;; amdgpu-corpus repo=ROCm/Tensile kind=harvested arch=n/a opt=n/a

/******************************************/
/* Function Prefix                        */
/******************************************/



/******************************************/
/* Begin Kernel                           */
/******************************************/

// Component.Signature.SignatureDefault
.amdgcn_target "amdgcn-amd-amdhsa--gfx942"
.text
.protected Cijk_Ailk_Bjlk_ZB_MT80x64x32_MI16x16x4x1_SN_1LDSB1_APM1_AF0EM1_AF1EM1_AMAS0_ASGT_ASLT_ASEM1_BL1_BS1_CLR0_DTVA0_DTVB1_ETB_EPS1_ELFLR0_EMLL0_FSSC10_FL0_GLVWA1_GLVWB1_GRCGA1_GRCGB1_GRVWn1_GSU1_GSUASB_GLS0_IU1_K1_LBSPPA0_LBSPPB0_LPA0_LPB0_LRVW1_MIAV1_MKFGSU256_NTA0_NTB0_NTC0_NTD0_NEPBS2_NLCA5_NLCB1_ONLL1_PK0_PGR2_PLR1_PKA0_SIA3_SS1_SU0_SUM0_SUS0_SPO0_SRVW0_SSO0_SVW1_TSGRA0_TSGRB0_TT5_16_TLDS0_UMLDSA0_UMLDSB0_USFGROn1_VAW1_VSn1_VW1_VWB1_VFLRP0_WSGRA0_WSGRB0_WG16_16_1_WGM1
.globl Cijk_Ailk_Bjlk_ZB_MT80x64x32_MI16x16x4x1_SN_1LDSB1_APM1_AF0EM1_AF1EM1_AMAS0_ASGT_ASLT_ASEM1_BL1_BS1_CLR0_DTVA0_DTVB1_ETB_EPS1_ELFLR0_EMLL0_FSSC10_FL0_GLVWA1_GLVWB1_GRCGA1_GRCGB1_GRVWn1_GSU1_GSUASB_GLS0_IU1_K1_LBSPPA0_LBSPPB0_LPA0_LPB0_LRVW1_MIAV1_MKFGSU256_NTA0_NTB0_NTC0_NTD0_NEPBS2_NLCA5_NLCB1_ONLL1_PK0_PGR2_PLR1_PKA0_SIA3_SS1_SU0_SUM0_SUS0_SPO0_SRVW0_SSO0_SVW1_TSGRA0_TSGRB0_TT5_16_TLDS0_UMLDSA0_UMLDSB0_USFGROn1_VAW1_VSn1_VW1_VWB1_VFLRP0_WSGRA0_WSGRB0_WG16_16_1_WGM1
.p2align 8
.type Cijk_Ailk_Bjlk_ZB_MT80x64x32_MI16x16x4x1_SN_1LDSB1_APM1_AF0EM1_AF1EM1_AMAS0_ASGT_ASLT_ASEM1_BL1_BS1_CLR0_DTVA0_DTVB1_ETB_EPS1_ELFLR0_EMLL0_FSSC10_FL0_GLVWA1_GLVWB1_GRCGA1_GRCGB1_GRVWn1_GSU1_GSUASB_GLS0_IU1_K1_LBSPPA0_LBSPPB0_LPA0_LPB0_LRVW1_MIAV1_MKFGSU256_NTA0_NTB0_NTC0_NTD0_NEPBS2_NLCA5_NLCB1_ONLL1_PK0_PGR2_PLR1_PKA0_SIA3_SS1_SU0_SUM0_SUS0_SPO0_SRVW0_SSO0_SVW1_TSGRA0_TSGRB0_TT5_16_TLDS0_UMLDSA0_UMLDSB0_USFGROn1_VAW1_VSn1_VW1_VWB1_VFLRP0_WSGRA0_WSGRB0_WG16_16_1_WGM1,@function
.section .rodata,#alloc
.p2align 6
.amdhsa_kernel Cijk_Ailk_Bjlk_ZB_MT80x64x32_MI16x16x4x1_SN_1LDSB1_APM1_AF0EM1_AF1EM1_AMAS0_ASGT_ASLT_ASEM1_BL1_BS1_CLR0_DTVA0_DTVB1_ETB_EPS1_ELFLR0_EMLL0_FSSC10_FL0_GLVWA1_GLVWB1_GRCGA1_GRCGB1_GRVWn1_GSU1_GSUASB_GLS0_IU1_K1_LBSPPA0_LBSPPB0_LPA0_LPB0_LRVW1_MIAV1_MKFGSU256_NTA0_NTB0_NTC0_NTD0_NEPBS2_NLCA5_NLCB1_ONLL1_PK0_PGR2_PLR1_PKA0_SIA3_SS1_SU0_SUM0_SUS0_SPO0_SRVW0_SSO0_SVW1_TSGRA0_TSGRB0_TT5_16_TLDS0_UMLDSA0_UMLDSB0_USFGROn1_VAW1_VSn1_VW1_VWB1_VFLRP0_WSGRA0_WSGRB0_WG16_16_1_WGM1
  .amdhsa_user_sgpr_kernarg_segment_ptr 1
  .amdhsa_user_sgpr_kernarg_preload_offset 0
  .amdhsa_user_sgpr_kernarg_preload_length 0
  .amdhsa_user_sgpr_count 2
  .amdhsa_accum_offset 256 // accvgpr offset
  .amdhsa_next_free_vgpr 256 // vgprs
  .amdhsa_next_free_sgpr 64 // sgprs
  .amdhsa_group_segment_fixed_size 40960 // lds bytes
  .amdhsa_private_segment_fixed_size 0
  .amdhsa_system_sgpr_workgroup_id_x 1
  .amdhsa_system_sgpr_workgroup_id_y 1
  .amdhsa_system_sgpr_workgroup_id_z 1
  .amdhsa_system_vgpr_workitem_id 0
  .amdhsa_float_denorm_mode_32 3
  .amdhsa_float_denorm_mode_16_64 3
.end_amdhsa_kernel
.text

/******************************************/
/* Optimizations and Config:              */
/******************************************/
/* ThreadTile= 20 x 1 */
/* SubGroup= 4 x 64 */
/* VectorWidthA=1 */
/* VectorWidthB=1 */
/* GlobalLoadVectorWidthA=1, GlobalLoadVectorWidthB=1 */
/* DirectToLdsA=False */
/* DirectToLdsB=False */
/* UseSgprForGRO=0 */
.amdgpu_metadata
---
amdhsa.version:
  - 1
  - 1
amdhsa.target: amdgcn-amd-amdhsa--gfx942
amdhsa.kernels:
  - .name: Cijk_Ailk_Bjlk_ZB_MT80x64x32_MI16x16x4x1_SN_1LDSB1_APM1_AF0EM1_AF1EM1_AMAS0_ASGT_ASLT_ASEM1_BL1_BS1_CLR0_DTVA0_DTVB1_ETB_EPS1_ELFLR0_EMLL0_FSSC10_FL0_GLVWA1_GLVWB1_GRCGA1_GRCGB1_GRVWn1_GSU1_GSUASB_GLS0_IU1_K1_LBSPPA0_LBSPPB0_LPA0_LPB0_LRVW1_MIAV1_MKFGSU256_NTA0_NTB0_NTC0_NTD0_NEPBS2_NLCA5_NLCB1_ONLL1_PK0_PGR2_PLR1_PKA0_SIA3_SS1_SU0_SUM0_SUS0_SPO0_SRVW0_SSO0_SVW1_TSGRA0_TSGRB0_TT5_16_TLDS0_UMLDSA0_UMLDSB0_USFGROn1_VAW1_VSn1_VW1_VWB1_VFLRP0_WSGRA0_WSGRB0_WG16_16_1_WGM1
    .symbol: 'Cijk_Ailk_Bjlk_ZB_MT80x64x32_MI16x16x4x1_SN_1LDSB1_APM1_AF0EM1_AF1EM1_AMAS0_ASGT_ASLT_ASEM1_BL1_BS1_CLR0_DTVA0_DTVB1_ETB_EPS1_ELFLR0_EMLL0_FSSC10_FL0_GLVWA1_GLVWB1_GRCGA1_GRCGB1_GRVWn1_GSU1_GSUASB_GLS0_IU1_K1_LBSPPA0_LBSPPB0_LPA0_LPB0_LRVW1_MIAV1_MKFGSU256_NTA0_NTB0_NTC0_NTD0_NEPBS2_NLCA5_NLCB1_ONLL1_PK0_PGR2_PLR1_PKA0_SIA3_SS1_SU0_SUM0_SUS0_SPO0_SRVW0_SSO0_SVW1_TSGRA0_TSGRB0_TT5_16_TLDS0_UMLDSA0_UMLDSB0_USFGROn1_VAW1_VSn1_VW1_VWB1_VFLRP0_WSGRA0_WSGRB0_WG16_16_1_WGM1.kd'
    .language:                   OpenCL C
    .language_version:
      - 2
      - 0
    .args:
      - .name:            Tensor2dSizeA
        .size:            8
        .offset:          0
        .value_kind:      by_value
        .value_type:      u64
      - .name:            Tensor2dSizeB
        .size:            8
        .offset:          8
        .value_kind:      by_value
        .value_type:      u64
      - .name:            AddressD
        .size:            8
        .offset:          16
        .value_kind:      by_value
        .value_type:      u64
      - .name:            AddressC
        .size:            8
        .offset:          24
        .value_kind:      by_value
        .value_type:      u64
      - .name:            AddressA
        .size:            8
        .offset:          32
        .value_kind:      by_value
        .value_type:      u64
      - .name:            AddressB
        .size:            8
        .offset:          40
        .value_kind:      by_value
        .value_type:      u64
      - .name:            Alpha
        .size:            16
        .offset:          48
        .value_kind:      by_value
        .value_type:      u128
      - .name:            Beta
        .size:            16
        .offset:          64
        .value_kind:      by_value
        .value_type:      u128
      - .name:            StridesD
        .size:            8
        .offset:          80
        .value_kind:      by_value
        .value_type:      u64
      - .name:            StridesC
        .size:            8
        .offset:          88
        .value_kind:      by_value
        .value_type:      u64
      - .name:            StridesA
        .size:            8
        .offset:          96
        .value_kind:      by_value
        .value_type:      u64
      - .name:            StridesB
        .size:            8
        .offset:          104
        .value_kind:      by_value
        .value_type:      u64
      - .name:            SizesFree
        .size:            12
        .offset:          112
        .value_kind:      by_value
        .value_type:      u96
      - .name:            SizesSum
        .size:            4
        .offset:          124
        .value_kind:      by_value
        .value_type:      u32
      - .name:            NumWorkGroups0
        .size:            4
        .offset:          128
        .value_kind:      by_value
        .value_type:      u32
      - .name:            NumWorkGroups1
        .size:            4
        .offset:          132
        .value_kind:      by_value
        .value_type:      u32
    .group_segment_fixed_size:   40960
    .kernarg_segment_align:      8
    .kernarg_segment_size:       136
    .max_flat_workgroup_size:    256
    .private_segment_fixed_size: 0
    .sgpr_count:                 64
    .sgpr_spill_count:           0
    .vgpr_count:                 256
    .vgpr_spill_count:           0
    .wavefront_size:             64
...
.end_amdgpu_metadata
Cijk_Ailk_Bjlk_ZB_MT80x64x32_MI16x16x4x1_SN_1LDSB1_APM1_AF0EM1_AF1EM1_AMAS0_ASGT_ASLT_ASEM1_BL1_BS1_CLR0_DTVA0_DTVB1_ETB_EPS1_ELFLR0_EMLL0_FSSC10_FL0_GLVWA1_GLVWB1_GRCGA1_GRCGB1_GRVWn1_GSU1_GSUASB_GLS0_IU1_K1_LBSPPA0_LBSPPB0_LPA0_LPB0_LRVW1_MIAV1_MKFGSU256_NTA0_NTB0_NTC0_NTD0_NEPBS2_NLCA5_NLCB1_ONLL1_PK0_PGR2_PLR1_PKA0_SIA3_SS1_SU0_SUM0_SUS0_SPO0_SRVW0_SSO0_SVW1_TSGRA0_TSGRB0_TT5_16_TLDS0_UMLDSA0_UMLDSB0_USFGROn1_VAW1_VSn1_VW1_VWB1_VFLRP0_WSGRA0_WSGRB0_WG16_16_1_WGM1:

/******************************************/
/* Asm syntax workarounds                 */
/******************************************/
.macro _v_add_co_u32 dst:req, cc:req, src0:req, src1:req, dpp=
   v_add_co_u32 \dst, \cc, \src0, \src1 \dpp
.endm

.macro _v_add_u32 dst:req, src0:req, src1:req, dpp=
   v_add_u32 \dst, \src0, \src1 \dpp
.endm

.macro _v_add_i32 dst:req, src0:req, src1:req, dpp=
   v_add_i32 \dst, \src0, \src1 \dpp
.endm

.macro _v_addc_co_u32 dst:req, ccOut:req, src0:req, ccIn:req, src1:req, dpp=
   v_addc_co_u32 \dst, \ccOut, \src0, \ccIn, \src1 \dpp
.endm

.macro _v_sub_co_u32 dst:req, cc:req, src0:req, src1:req, dpp=
   v_sub_co_u32 \dst, \cc, \src0, \src1 \dpp
.endm

.macro _v_sub_u32 dst:req, src0:req, src1:req, dpp=
   v_sub_u32 \dst, \src0, \src1 \dpp
.endm

.macro _v_sub_i32 dst:req, src0:req, src1:req, dpp=
   v_sub_i32 \dst, \src0, \src1 \dpp
.endm

.macro _v_add_lshl_u32 dst:req, src0:req, src1:req, shiftCnt:req
    v_add_lshl_u32 \dst, \src0, \src1, \shiftCnt
.endm

.macro _v_lshl_add_u32 dst:req, src0:req, src1:req, shiftCnt:req
    v_lshl_add_u32 \dst, \src0, \src1, \shiftCnt
.endm

.macro _v_lshl_or_b32 dst:req, src0:req, shiftCnt:req, src1:req
    v_lshl_or_b32 \dst, \src0, \shiftCnt, \src1
.endm

.macro _v_dot2acc_f32_f16 dst, src0, src1
v_dot2c_f32_f16 \dst, \src0, \src1
.endm

.macro _v_cmpx_lt_i16 dst, src0, src1=
   v_cmpx_lt_i16 \dst, \src0, \src1 
.endm

.macro _v_cmpx_lt_i32 dst, src0, src1=
   v_cmpx_lt_i32 \dst, \src0, \src1 
.endm

.macro _v_cmpx_lt_i64 dst, src0, src1=
   v_cmpx_lt_i64 \dst, \src0, \src1 
.endm

.macro _v_cmpx_lt_u16 dst, src0, src1=
   v_cmpx_lt_u16 \dst, \src0, \src1 
.endm

.macro _v_cmpx_lt_u32 dst, src0, src1=
   v_cmpx_lt_u32 \dst, \src0, \src1 
.endm

.macro _v_cmpx_lt_u64 dst, src0, src1=
   v_cmpx_lt_u64 \dst, \src0, \src1 
.endm

.macro _v_cmpx_eq_i16 dst, src0, src1=
   v_cmpx_eq_i16 \dst, \src0, \src1 
.endm

.macro _v_cmpx_eq_i32 dst, src0, src1=
   v_cmpx_eq_i32 \dst, \src0, \src1 
.endm

.macro _v_cmpx_eq_i64 dst, src0, src1=
   v_cmpx_eq_i64 \dst, \src0, \src1 
.endm

.macro _v_cmpx_eq_u16 dst, src0, src1=
   v_cmpx_eq_u16 \dst, \src0, \src1 
.endm

.macro _v_cmpx_eq_u32 dst, src0, src1=
   v_cmpx_eq_u32 \dst, \src0, \src1 
.endm

.macro _v_cmpx_eq_u64 dst, src0, src1=
   v_cmpx_eq_u64 \dst, \src0, \src1 
.endm

.macro _v_cmpx_le_i16 dst, src0, src1=
   v_cmpx_le_i16 \dst, \src0, \src1 
.endm

.macro _v_cmpx_le_i32 dst, src0, src1=
   v_cmpx_le_i32 \dst, \src0, \src1 
.endm

.macro _v_cmpx_le_i64 dst, src0, src1=
   v_cmpx_le_i64 \dst, \src0, \src1 
.endm

.macro _v_cmpx_le_u16 dst, src0, src1=
   v_cmpx_le_u16 \dst, \src0, \src1 
.endm

.macro _v_cmpx_le_u32 dst, src0, src1=
   v_cmpx_le_u32 \dst, \src0, \src1 
.endm

.macro _v_cmpx_le_u64 dst, src0, src1=
   v_cmpx_le_u64 \dst, \src0, \src1 
.endm

.macro _v_cmpx_gt_i16 dst, src0, src1=
   v_cmpx_gt_i16 \dst, \src0, \src1 
.endm

.macro _v_cmpx_gt_i32 dst, src0, src1=
   v_cmpx_gt_i32 \dst, \src0, \src1 
.endm

.macro _v_cmpx_gt_i64 dst, src0, src1=
   v_cmpx_gt_i64 \dst, \src0, \src1 
.endm

.macro _v_cmpx_gt_u16 dst, src0, src1=
   v_cmpx_gt_u16 \dst, \src0, \src1 
.endm

.macro _v_cmpx_gt_u32 dst, src0, src1=
   v_cmpx_gt_u32 \dst, \src0, \src1 
.endm

.macro _v_cmpx_gt_u64 dst, src0, src1=
   v_cmpx_gt_u64 \dst, \src0, \src1 
.endm

.macro _v_cmpx_ne_i16 dst, src0, src1=
   v_cmpx_ne_i16 \dst, \src0, \src1 
.endm

.macro _v_cmpx_ne_i32 dst, src0, src1=
   v_cmpx_ne_i32 \dst, \src0, \src1 
.endm

.macro _v_cmpx_ne_i64 dst, src0, src1=
   v_cmpx_ne_i64 \dst, \src0, \src1 
.endm

.macro _v_cmpx_ne_u16 dst, src0, src1=
   v_cmpx_ne_u16 \dst, \src0, \src1 
.endm

.macro _v_cmpx_ne_u32 dst, src0, src1=
   v_cmpx_ne_u32 \dst, \src0, \src1 
.endm

.macro _v_cmpx_ne_u64 dst, src0, src1=
   v_cmpx_ne_u64 \dst, \src0, \src1 
.endm

.macro _v_cmpx_lg_i16 dst, src0, src1=
   v_cmpx_lg_i16 \dst, \src0, \src1 
.endm

.macro _v_cmpx_lg_i32 dst, src0, src1=
   v_cmpx_lg_i32 \dst, \src0, \src1 
.endm

.macro _v_cmpx_lg_i64 dst, src0, src1=
   v_cmpx_lg_i64 \dst, \src0, \src1 
.endm

.macro _v_cmpx_lg_u16 dst, src0, src1=
   v_cmpx_lg_u16 \dst, \src0, \src1 
.endm

.macro _v_cmpx_lg_u32 dst, src0, src1=
   v_cmpx_lg_u32 \dst, \src0, \src1 
.endm

.macro _v_cmpx_lg_u64 dst, src0, src1=
   v_cmpx_lg_u64 \dst, \src0, \src1 
.endm

.macro _v_cmpx_ge_i16 dst, src0, src1=
   v_cmpx_ge_i16 \dst, \src0, \src1 
.endm

.macro _v_cmpx_ge_i32 dst, src0, src1=
   v_cmpx_ge_i32 \dst, \src0, \src1 
.endm

.macro _v_cmpx_ge_i64 dst, src0, src1=
   v_cmpx_ge_i64 \dst, \src0, \src1 
.endm

.macro _v_cmpx_ge_u16 dst, src0, src1=
   v_cmpx_ge_u16 \dst, \src0, \src1 
.endm

.macro _v_cmpx_ge_u32 dst, src0, src1=
   v_cmpx_ge_u32 \dst, \src0, \src1 
.endm

.macro _v_cmpx_ge_u64 dst, src0, src1=
   v_cmpx_ge_u64 \dst, \src0, \src1 
.endm

.macro _v_cmpx_o_i16 dst, src0, src1=
   v_cmpx_o_i16 \dst, \src0, \src1 
.endm

.macro _v_cmpx_o_i32 dst, src0, src1=
   v_cmpx_o_i32 \dst, \src0, \src1 
.endm

.macro _v_cmpx_o_i64 dst, src0, src1=
   v_cmpx_o_i64 \dst, \src0, \src1 
.endm

.macro _v_cmpx_o_u16 dst, src0, src1=
   v_cmpx_o_u16 \dst, \src0, \src1 
.endm

.macro _v_cmpx_o_u32 dst, src0, src1=
   v_cmpx_o_u32 \dst, \src0, \src1 
.endm

.macro _v_cmpx_o_u64 dst, src0, src1=
   v_cmpx_o_u64 \dst, \src0, \src1 
.endm

.macro _v_cmpx_u_i16 dst, src0, src1=
   v_cmpx_u_i16 \dst, \src0, \src1 
.endm

.macro _v_cmpx_u_i32 dst, src0, src1=
   v_cmpx_u_i32 \dst, \src0, \src1 
.endm

.macro _v_cmpx_u_i64 dst, src0, src1=
   v_cmpx_u_i64 \dst, \src0, \src1 
.endm

.macro _v_cmpx_u_u16 dst, src0, src1=
   v_cmpx_u_u16 \dst, \src0, \src1 
.endm

.macro _v_cmpx_u_u32 dst, src0, src1=
   v_cmpx_u_u32 \dst, \src0, \src1 
.endm

.macro _v_cmpx_u_u64 dst, src0, src1=
   v_cmpx_u_u64 \dst, \src0, \src1 
.endm
.macro _v_mac_f32 c:req, a:req, b:req
    v_fmac_f32 \c, \a, \b
.endmacro

/* scale global load macros */
.macro _s_load_b32 dst base offset
    s_load_dword \dst \base \offset
.endm

.macro _s_load_b64 dst base offset
    s_load_dwordx2 \dst \base \offset
.endm

.macro _s_load_b128 dst base offset
    s_load_dwordx4 \dst \base \offset
.endm

.macro _s_load_b256 dst base offset
    s_load_dwordx8 \dst \base \offset
.endm

.macro _s_load_b512 dst base offset
    s_load_dwordx16 \dst \base \offset
.endm


/* ds operation macros */
.macro _ds_load_u8 dst src offset
    ds_read_u8 \dst \src \offset
.endm

.macro _ds_load_u8_d16_hi dst src offset
    ds_read_u8_d16_hi \dst \src \offset
.endm

.macro _ds_load_u16 dst src offset
    ds_read_u16 \dst \src \offset
.endm

.macro _ds_load_u16_d16_hi dst src offset
    ds_read_u16_d16_hi \dst \src \offset
.endm

.macro _ds_load_b32 dst src offset
    ds_read_b32 \dst \src \offset
.endm

.macro _ds_load_b64 dst src offset
    ds_read_b64 \dst \src \offset
.endm

.macro _ds_load_b128 dst src offset
    ds_read_b128 \dst \src \offset
.endm

.macro _ds_store_b8 dst src offset
    ds_write_b8 \dst \src \offset
.endm

.macro _ds_store_b8_d16_hi dst src offset
    ds_write_b8_d16_hi \dst \src \offset
.endm

.macro _ds_store_b16 dst src offset
    ds_write_b16 \dst \src \offset
.endm

.macro _ds_store_b16_d16_hi dst src offset
    ds_write_b16_d16_hi \dst \src \offset
.endm

.macro _ds_store_b32 dst src offset
    ds_write_b32 \dst \src \offset
.endm

.macro _ds_store_b64 dst src offset
    ds_write_b64 \dst \src \offset
.endm

.macro _ds_store_b128 dst src offset
    ds_write_b128 \dst \src \offset
.endm

.macro _ds_load2_b32 dst src offset1 offset2
    ds_read2_b32 \dst \src \offset1 \offset2
.endm

.macro _ds_load2_b64 dst src offset1 offset2
    ds_read2_b64 \dst \src \offset1 \offset2
.endm

.macro _ds_store2_b32 dst src offset1 offset2
    ds_write2_b32 \dst \src \offset1 \offset2
.endm

.macro _ds_store2_b64 dst src offset1 offset2
    ds_write2_b64 \dst \src \offset1 \offset2
.endm


/* buffer memory operation macros */
.macro _buffer_load_b32 dst voffset base soffset offen ioffset md0 md1 md2
    buffer_load_dword \dst \voffset \base \soffset \offen \ioffset \md0 \md1 \md2
.endm

.macro _buffer_load_b64 dst voffset base soffset offen ioffset md0 md1 md2
    buffer_load_dwordx2 \dst \voffset \base \soffset \offen \ioffset \md0 \md1 \md2
.endm

.macro _buffer_load_b96 dst voffset base soffset offen ioffset md0 md1 md2
    buffer_load_dwordx3 \dst \voffset \base \soffset \offen \ioffset \md0 \md1 \md2
.endm

.macro _buffer_load_b128 dst voffset base soffset offen ioffset md0 md1 md2
    buffer_load_dwordx4 \dst \voffset \base \soffset \offen \ioffset \md0 \md1 \md2
.endm

.macro _buffer_load_d16_b16 dst voffset base soffset offen ioffset md0 md1 md2
    buffer_load_short_d16 \dst \voffset \base \soffset \offen \ioffset \md0 \md1 \md2
.endm

.macro _buffer_load_d16_hi_b16 dst voffset base soffset offen ioffset md0 md1 md2
    buffer_load_short_d16_hi \dst \voffset \base \soffset \offen \ioffset \md0 \md1 \md2
.endm

.macro _buffer_load_d16_u8 dst voffset base soffset offen ioffset md0 md1 md2
    buffer_load_ubyte_d16 \dst \voffset \base \soffset \offen \ioffset \md0 \md1 \md2
.endm

.macro _buffer_load_d16_hi_u8 dst voffset base soffset offen ioffset md0 md1 md2
    buffer_load_ubyte_d16_hi \dst \voffset \base \soffset \offen \ioffset \md0 \md1 \md2
.endm

.macro _buffer_load_u16 dst voffset base soffset offen ioffset md0 md1 md2
    buffer_load_ushort \dst \voffset \base \soffset \offen \ioffset \md0 \md1 \md2
.endm

.macro _buffer_load_b32_dtl voffset base soffset offen ioffset md0 md1 md2
    buffer_load_dword \voffset \base \soffset \offen \ioffset \md0 \md1 \md2
.endm

.macro _buffer_load_b64_dtl voffset base soffset offen ioffset md0 md1 md2
    buffer_load_dwordx2 \voffset \base \soffset \offen \ioffset \md0 \md1 \md2
.endm

.macro _buffer_load_b128_dtl voffset base soffset offen ioffset md0 md1 md2
    buffer_load_dwordx4 \voffset \base \soffset \offen \ioffset \md0 \md1 \md2
.endm

.macro _buffer_load_u16_dtl voffset base soffset offen ioffset md0 md1 md2
    buffer_load_ushort \voffset \base \soffset \offen \ioffset \md0 \md1 \md2
.endm

.macro _buffer_store_b32 src voffset base soffset offen ioffset md0 md1 md2
    buffer_store_dword \src \voffset \base \soffset \offen \ioffset \md0 \md1 \md2
.endm

.macro _buffer_store_b64 src voffset base soffset offen ioffset md0 md1 md2
    buffer_store_dwordx2 \src \voffset \base \soffset \offen \ioffset \md0 \md1 \md2
.endm

.macro _buffer_store_b96 src voffset base soffset offen ioffset md0 md1 md2
    buffer_store_dwordx3 \src \voffset \base \soffset \offen \ioffset \md0 \md1 \md2
.endm

.macro _buffer_store_b128 src voffset base soffset offen ioffset md0 md1 md2
    buffer_store_dwordx4 \src \voffset \base \soffset \offen \ioffset \md0 \md1 \md2
.endm

.macro _buffer_store_b16 src voffset base soffset offen ioffset md0 md1 md2
    buffer_store_short \src \voffset \base \soffset \offen \ioffset \md0 \md1 \md2
.endm

.macro _buffer_store_d16_hi_b16 src voffset base soffset offen ioffset md0 md1 md2
    buffer_store_short_d16_hi \src \voffset \base \soffset \offen \ioffset \md0 \md1 \md2
.endm

.macro _buffer_store_b8 src voffset base soffset offen ioffset md0 md1 md2
    buffer_store_byte \src \voffset \base \soffset \offen \ioffset \md0 \md1 \md2
.endm

.macro _buffer_store_d16_hi_b8 src voffset base soffset offen ioffset md0 md1 md2
    buffer_store_byte_d16_hi \src \voffset \base \soffset \offen \ioffset \md0 \md1 \md2
.endm

.macro _buffer_atomic_cmpswap_b32 dst voffset base soffset offen ioffset md0 md1 md2
    buffer_atomic_cmpswap \dst \voffset \base \soffset \offen \ioffset \md0 \md1 \md2
.endm

.macro _buffer_atomic_cmpswap_b64 dst voffset base soffset offen ioffset md0 md1 md2
    buffer_atomic_cmpswap_x2 \dst \voffset \base \soffset \offen \ioffset \md0 \md1 \md2
.endm


/* buffer memory operation macros */
.macro _global_load_b32 dst base src ioffset md0 md1 md2
    global_load_dword \dst \base \src \ioffset \md0 \md1 \md2
.endm

.macro _global_load_b64 dst base src ioffset md0 md1 md2
    global_load_dwordx2 \dst \base \src \ioffset \md0 \md1 \md2
.endm

.macro _global_load_b96 dst base src ioffset md0 md1 md2
    global_load_dwordx3 \dst \base \src \ioffset \md0 \md1 \md2
.endm

.macro _global_load_b128 dst base src ioffset md0 md1 md2
    global_load_dwordx4 \dst \base \src \ioffset \md0 \md1 \md2
.endm

.macro _global_load_d16_b16 dst base src ioffset md0 md1 md2
    global_load_short_d16 \dst \base \src \ioffset \md0 \md1 \md2
.endm

.macro _global_load_d16_hi_b16 dst base src ioffset md0 md1 md2
    global_load_short_d16_hi \dst \base \src \ioffset \md0 \md1 \md2
.endm

.macro _global_load_d16_u8 dst base src ioffset md0 md1 md2
    global_load_ubyte_d16 \dst \base \src \ioffset \md0 \md1 \md2
.endm

.macro _global_load_d16_hi_u8 dst base src ioffset md0 md1 md2
    global_load_ubyte_d16_hi \dst \base \src \ioffset \md0 \md1 \md2
.endm

.macro _global_load_u16 dst base src ioffset md0 md1 md2
    global_load_ushort \dst \base \src \ioffset \md0 \md1 \md2
.endm

.macro _global_store_b32 base src src2 md0 md1 md2
    global_store_dword \base \src \src2 \md0 \md1 \md2
.endm

.macro _global_store_b64 base src src2 md0 md1 md2
    global_store_dwordx2 \base \src \src2 \md0 \md1 \md2
.endm

.macro _global_store_b96 base src src2 md0 md1 md2
    global_store_dwordx3 \base \src \src2 \md0 \md1 \md2
.endm

.macro _global_store_b128 base src src2 md0 md1 md2
    global_store_dwordx4 \base \src \src2 \md0 \md1 \md2
.endm

.macro _global_store_d16_b16 base src src2 md0 md1 md2
    global_store_short \base \src \src2 \md0 \md1 \md2
.endm

.macro _global_store_d16_hi_b16 base src src2 md0 md1 md2
    global_store_short_d16_hi \base \src \src2 \md0 \md1 \md2
.endm

.macro _global_store_d16_u8 base src src2 md0 md1 md2
    global_store_ubyte_d16 \base \src \src2 \md0 \md1 \md2
.endm

.macro _global_store_d16_hi_u8 base src src2 md0 md1 md2
    global_store_ubyte_d16_hi \base \src \src2 \md0 \md1 \md2
.endm

.macro _global_store_u16 base src src2 md0 md1 md2
    global_store_ushort \base \src \src2 \md0 \md1 \md2
.endm

.macro _global_atomic_cmpswap_b32 tmp base data src ioffset md
    global_atomic_cmpswap \tmp \base \data \src \ioffset \md
.endm

.macro _global_atomic_cmpswap_b64 tmp base data src ioffset md
    global_atomic_cmpswap_x2 \tmp \base \data \src \ioffset \md
.endm


/******************************************/
/* Magic div and mod functions            */
/******************************************/
.macro V_MAGIC_DIV dstIdx:req, dividend:req, magicNumber:req, magicShift:req, magicA:req
    v_mul_hi_u32 v[\dstIdx+1], \dividend, \magicNumber
    v_mul_lo_u32 v[\dstIdx+0], \dividend, \magicA
    _v_add_u32 v[\dstIdx+0], v[\dstIdx+0], v[\dstIdx+1]
    v_lshrrev_b32 v[\dstIdx+0], \magicShift, v[\dstIdx+0]
.endm

/******************************************/
/* VGPR Assignments                       */
/******************************************/
/* ValuC range: [0-80), serializedStore enabled */
.set vgprValuC, 0
/* ValuA/B   Xn=PLR buffer idx,  In=InnerUnroll idx */
.set vgprValuA_X0_I0, 80
.set vgprValuA_X1_I0, 100
.set vgprG2LA, 140
.set vgprG2LB, 180
.set vgprG2LB0, 180
.set vgprG2LB1, 212
.set vgprLocalWriteAddrA, 120
.set vgprGlobalReadOffsetA, 121
.set vgprGlobalReadOffsetB, 131
.set vgprLocalReadAddrA, 244
.set vgprSerial, 245
/* Num VGPR=256 */
/* Num AccVGPR=0 */

/******************************************/
/* SGPR Assignments                       */
/******************************************/
.set sgprKernArgAddress, 0 // (2)
.set sgprWorkGroup0, 2 // (1)
.set sgprWorkGroup1, 3 // (1)
.set sgprWorkGroup2, 4 // (1)
.set sgprLoopCounterL, 5 // (1)
.set sgprOrigLoopCounter, 6 // (1)
.set sgprSrdA, 8 // (4)
.set sgprSrdB, 12 // (4)
.set sgprSrdD, 16 // (4)
.set sgprSrdC, 20 // (4)
.set sgprTensor2dSizeA, 24 // (2)
.set sgprTensor2dSizeB, 26 // (2)
.set sgprAddressD, 28 // (2)
.set sgprAddressC, 30 // (2)
.set sgprAddressA, 32 // (2)
.set sgprAddressB, 34 // (2)
.set sgprAlpha, 36 // (4)
.set sgprBeta, 40 // (4)
.set sgprStridesD, 44 // (2)
.set sgprStridesC, 46 // (2)
.set sgprStridesA, 48 // (2)
.set sgprStridesB, 50 // (2)
.set sgprSizesFree, 52 // (3)
.set sgprSizesSum, 55 // (1)
.set sgprNumWorkGroups0, 56 // (1)
.set sgprNumWorkGroups1, 57 // (1)
.set sgprShadowLimitA, 0 // (2)
.set sgprShadowLimitB, 28 // (2)
.set sgprGlobalReadIncsA, 7 // (1)
.set sgprGlobalReadIncsB, 30 // (1)
/* max SGPR=64 */

/* Size Assignments */
.set sgprSizeI, sgprSizesFree+0
.set sgprSizeJ, sgprSizesFree+1
.set sgprSizeK, sgprSizesFree+2
.set sgprSizeL, sgprSizesSum+0

/* Stride Assignments */
.set constStrideD0I, 1
.set sgprStrideD1J, sgprStridesD+0
.set sgprStrideDK, sgprStridesD+1
.set constStrideC0I, 1
.set sgprStrideC1J, sgprStridesC+0
.set sgprStrideCK, sgprStridesC+1
.set constStrideA0I, 1
.set sgprStrideAL, sgprStridesA+0
.set sgprStrideAK, sgprStridesA+1
.set constStrideB1J, 1
.set sgprStrideBL, sgprStridesB+0
.set sgprStrideBK, sgprStridesB+1

.set MT0, 80
.set MT1, 64
.set DepthU, 32
.set GSU, 1
.set BpeA, 16
.set BpeALog2, 4
.set BpeB, 16
.set BpeBLog2, 4
/* Number of elements to shift-left SRD */
.set SrdShiftLeftA, 1
.set SrdShiftLeftB, 1
/* 2GB limit - set offsets to -1 to exceed this and clamp */
.set BufferLimitA, 0xffffffff
.set BufferLimitB, 0xffffffff
.set BufferOOB, 0xfffff000

/******************************************/
/* Bits 127:96 of SRD.                    */
/* hex: 0x00020000                        */
/* dst_sel_x (3b): 0                      */
/* dst_sel_y (3b): 0                      */
/* dst_sel_z (3b): 0                      */
/* dst_sel_w (3b): 0                      */
/* num_format (3b): 0                     */
/* data_format (4b): 4                    */
/* user_vm_enable (1b): 0                 */
/* user_vm_mode (1b): 0                   */
/* index_stride (2b): 0                   */
/* add_tid_enable (1b): 0                 */
/* _unusedA (3b): 0                       */
/* nv (1b): 0                             */
/* _unusedB (2b): 0                       */
/* type (2b): 0                           */
/******************************************/
.set Srd127_96, 0x00020000

/* Global Offset A */
.macro GLOBAL_OFFSET_A vgprAddr:req vgprOffset0I:req vgprOffsetL:req vgprTmp:req
v_mul_lo_u32 v[\vgprTmp+0], s[sgprStrideAL], v[\vgprOffsetL] // mul d1 lower
_v_add_co_u32 v[\vgprAddr+0], vcc, v[\vgprOffset0I], v[\vgprTmp+0] // accumulate K lower
_v_add_u32 v[\vgprAddr+0], 0x1, v[\vgprAddr+0]     // add prepad for pointer shift
v_lshlrev_b32 v[\vgprAddr+0], 0x4, v[\vgprAddr+0]  // offset *= bytes/element
.endm

/* Global Offset B */
.macro GLOBAL_OFFSET_B vgprAddr:req vgprOffset1J:req vgprOffsetL:req vgprTmp:req
v_mul_lo_u32 v[\vgprTmp+0], s[sgprStrideBL], v[\vgprOffsetL] // mul d1 lower
_v_add_co_u32 v[\vgprAddr+0], vcc, v[\vgprOffset1J], v[\vgprTmp+0] // accumulate K lower
_v_add_u32 v[\vgprAddr+0], 0x1, v[\vgprAddr+0]     // add prepad for pointer shift
v_lshlrev_b32 v[\vgprAddr+0], 0x4, v[\vgprAddr+0]  // offset *= bytes/element
.endm

/******************************************/
/* Dynamic Scalar Divide: vQuotient=vDividend/vDivisor; vRemainder=vDividend%vDivisor; */
/******************************************/
.macro DYNAMIC_VECTOR_DIVIDE vQuotient vRemainder vDividend vDivisor vTmp0 vTmp1 sTmp
v_cvt_f32_u32 v[\vQuotient], v[\vDivisor]          // 
v_rcp_f32 v[\vQuotient], v[\vQuotient]             // 
v_mul_f32 v[\vQuotient], 0x4f800000, v[\vQuotient] // 
v_cvt_u32_f32 v[\vQuotient], v[\vQuotient]         // 
v_mul_lo_u32 v[\vRemainder], v[\vDivisor], v[\vQuotient] // 
v_mul_hi_u32 v[\vTmp0], v[\vDivisor], v[\vQuotient] // 
_v_sub_co_u32 v[\vTmp1], vcc, 0x0, v[\vRemainder]  // 
v_cmp_ne_i32 s[\sTmp:\sTmp+1], 0x0, v[\vTmp0]      // 
v_cndmask_b32 v[\vRemainder], v[\vTmp1], v[\vRemainder], s[\sTmp:\sTmp+1] // 
v_mul_hi_u32 v[\vRemainder], v[\vRemainder], v[\vQuotient] // 
_v_sub_co_u32 v[\vTmp0], vcc, v[\vQuotient], v[\vRemainder] // 
_v_add_co_u32 v[\vQuotient], vcc, v[\vQuotient], v[\vRemainder] // 
v_cndmask_b32 v[\vQuotient], v[\vQuotient], v[\vTmp0], s[\sTmp:\sTmp+1] // 
v_mul_hi_u32 v[\vQuotient], v[\vQuotient], v[\vDividend] // 
v_mul_lo_u32 v[\vRemainder], v[\vQuotient], v[\vDivisor] // 
_v_sub_co_u32 v[\vTmp0], vcc, v[\vDividend], v[\vRemainder] // 
v_cmp_ge_u32 s[\sTmp:\sTmp+1], v[\vDividend], v[\vRemainder] // 
_v_add_co_u32 v[\vRemainder], vcc, 0x1, v[\vQuotient] // 
_v_add_co_u32 v[\vTmp1], vcc, -1, v[\vQuotient]    // 
v_cmp_le_u32 vcc, v[\vDivisor], v[\vTmp0]          // 
s_and_b64 vcc, s[\sTmp:\sTmp+1], vcc               // 
v_cndmask_b32 v[\vQuotient], v[\vQuotient], v[\vRemainder], vcc // 
v_cndmask_b32 v[\vQuotient], v[\vTmp1], v[\vQuotient], s[\sTmp:\sTmp+1] // 
v_cmp_ne_i32 vcc, 0x0, v[\vDivisor]                // 
v_cndmask_b32 v[\vQuotient], -1, v[\vQuotient], vcc // final result
v_mul_lo_u32 v[\vRemainder], v[\vQuotient], v[\vDivisor] // 
_v_sub_co_u32 v[\vRemainder], vcc, v[\vDividend], v[\vRemainder] // final result
.endm


	;; [unrolled: 1-line block ×3, first 2 shown]
/******************************************/
/* Allocate Resources                     */
/******************************************/

Cijk_Ailk_Bjlk_ZB_MT80x64x32_MI16x16x4x1_SN_1LDSB1_APM1_AF0EM1_AF1EM1_AMAS0_ASGT_ASLT_ASEM1_BL1_BS1_CLR0_DTVA0_DTVB1_ETB_EPS1_ELFLR0_EMLL0_FSSC10_FL0_GLVWA1_GLVWB1_GRCGA1_GRCGB1_GRVWn1_GSU1_GSUASB_GLS0_IU1_K1_LBSPPA0_LBSPPB0_LPA0_LPB0_LRVW1_MIAV1_MKFGSU256_NTA0_NTB0_NTC0_NTD0_NEPBS2_NLCA5_NLCB1_ONLL1_PK0_PGR2_PLR1_PKA0_SIA3_SS1_SU0_SUM0_SUS0_SPO0_SRVW0_SSO0_SVW1_TSGRA0_TSGRB0_TT5_16_TLDS0_UMLDSA0_UMLDSB0_USFGROn1_VAW1_VSn1_VW1_VWB1_VFLRP0_WSGRA0_WSGRB0_WG16_16_1_WGM1_preloaded: // Kernel start when preloading

/* Load Kernel Args */
_s_load_b512 s[24:39], s[sgprKernArgAddress:sgprKernArgAddress+1], 0x0 // 
_s_load_b512 s[40:55], s[sgprKernArgAddress:sgprKernArgAddress+1], 0x40 // 
_s_load_b64 s[56:57], s[sgprKernArgAddress:sgprKernArgAddress+1], 0x80 // 
s_mov_b32 m0, 0xa000                               // LDS clamp at 40960 bytes
v_mov_b32 v[vgprSerial], v0                        // thread serial id

/******************************************/
/* Local Read Addresses                   */
/******************************************/


/* local read addresses: tile assignments a/b */

/*lr0I*/
v_and_b32 v1, 63, v[vgprSerial]                    // 0. thread id in wave: wtid = tid % wavelength(64)
v_and_b32 v0, 15, v1                               // 1. N offset: nIdx = wtid % MI_N(16)
                                                   // 1. N offset: nOffset = nIdx * nStride(1) (multiplier is 1, do nothing)
                                                   // 2. block offset: bnIdx = bnIdx % num1DBlocks(1) is 0. do nothing
                                                   // 4. apply VectorWidth: bnOffset = bnOffset * vw(1) (multiplier is 1, do nothing)
v_lshrrev_b32 v1, 4, v1                            // 5. K offset: kIdx = wtid / (MIN(16) * MIBB(1))
s_mov_b32 s7, 0x50                                 // 5. K offset: lrKOffset = kIdx * mStride(80)
v_mul_lo_u32 v1, s7, v1                            // 5. K offset: lrKOffset = kIdx * mStride(80)
_v_add_u32 v0, v1, v0                              // 6. offset in wave: lrOffset = bnOffset + lrKOffset


/* local read addresses: final offsets a */

v_lshlrev_b32 v[vgprLocalReadAddrA], 0x4, v0       // Final Offset: offset = (lro0)*bpe


/* local read addresses: final offsets b */


	;; [unrolled: 1-line block ×3, first 2 shown]
/* local read addresses: declare addresses a */

/* N/A */


/* local read addresses: declare addresses b */


	;; [unrolled: 1-line block ×3, first 2 shown]
/* global read addresses: tile offset assignment a */

/* LVCA = 16 */
/* v0 = (local)groA-tile = serial%LVCA (note (wgA*MTA) will be added to SRD) */
/* v1 = groA-unroll = serial/LVCA */
v_lshrrev_b32 v1, 4, v[vgprSerial]                 // v1 = v[vgprSerial] / 16
v_and_b32 v0, 15, v[vgprSerial]                    // v0 = v[vgprSerial] % 16
/* gro-tile *= glvw */
                                                   // v0 = v0 * 1 (multiplier is 1, do nothing)


/* global read addresses: tile offset assignment b */

/* LVCB = 64 */
/* v2 = (local)groB-tile = serial%LVCB (note (wgB*MTB) will be added to SRD) */
/* v3 = groB-unroll = serial/LVCB */
v_and_b32 v3, 63, v[vgprSerial]                    // 0. thread id in wave: wtid = tid % wavelength(64)
v_and_b32 v2, 15, v3                               // 1. N offset: nIdx = wtid % MI_N(16)
                                                   // 1. N offset: nOffset = nIdx * nStride(1) (multiplier is 1, do nothing)
                                                   // 2. block offset: bnIdx = bnIdx % num1DBlocks(1) is 0. do nothing
                                                   // 4. apply VectorWidth: bnOffset = bnOffset * vw(1) (multiplier is 1, do nothing)
v_lshrrev_b32 v3, 4, v3                            // 5. K offset: kIdx = wtid / (MIN(16) * MIBB(1))
v_lshrrev_b32 v5, 6, v[vgprSerial]                 // v5 = v[vgprSerial] / 64
v_and_b32 v4, 3, v5                                // v4 = v5 % 4
v_lshlrev_b32 v4, 0x4, v4                          // v4 = v4 * 16
_v_add_u32 v2, v4, v2                              // 
                                                   // v3 = v3 * 1 (multiplier is 1, do nothing)
/* gro-tile *= glvw */
                                                   // v2 = v2 * 1 (multiplier is 1, do nothing)


/******************************************/
/* Local Write Addresses                  */
/******************************************/

/* lwaTileAssignmentA = v0 */

/* lwaTileAssignmentB = v2 */

/* lwaUnrollAssignmentA = v1 */

/* lwaUnrollAssignmentB = v3 */


/* local write addresses: first offset a */

v_mul_u32_u24 v[vgprLocalWriteAddrA], 0x50, v1     // lwAL**(MTA + PAD)
_v_add_lshl_u32 v[vgprLocalWriteAddrA], v0, v[vgprLocalWriteAddrA], 0x4 // lwFOA = (lwAA + lwAL*(MT0I+PAD))*bpe


/* local write addresses: first offset b */


	;; [unrolled: 1-line block ×8, first 2 shown]
s_waitcnt lgkmcnt(0)                               // wait for 136 bytes of kern args
s_mov_b64 s[sgprSrdC+0:sgprSrdC+0+1], s[sgprAddressC+0:sgprAddressC+0+1] // copy addressC
s_mov_b64 s[sgprSrdD+0:sgprSrdD+0+1], s[sgprAddressD+0:sgprAddressD+0+1] // copy addressD
s_sub_u32 s[sgprSrdA+0], s[sgprAddressA+0], 16     // pre-pad to make room for possible pointer shift
s_subb_u32 s[sgprSrdA+1], s[sgprAddressA+1], 0     // pre-pad to make room for possible pointer shift
s_sub_u32 s[sgprSrdB+0], s[sgprAddressB+0], 16     // pre-pad to make room for possible pointer shift
s_subb_u32 s[sgprSrdB+1], s[sgprAddressB+1], 0     // pre-pad to make room for possible pointer shift

.set AddressD, UNDEF
.set AddressC, UNDEF
.set AddressA, UNDEF
.set AddressB, UNDEF

/* Short circuit condition if Alpha == 0, then sumDims=0 */
v_cmp_eq_f64 vcc, s[sgprAlpha:sgprAlpha+1], 0.0    // Alpha.real == 0.0 ?
s_cbranch_vccz label_AlphaNonZero                  // branch if Alpha.real != 0
v_cmp_eq_f64 vcc, s[sgprAlpha+2:sgprAlpha+2+1], 0.0 // Alpha.imag == 0.0 ?
s_cbranch_vccz label_AlphaNonZero                  // branch if Alpha.imag != 0
s_mov_b32 s[sgprSizesSum+0], 0x0                   // Set summation dim=0 if Alpha == 0
label_AlphaNonZero:


	;; [unrolled: 1-line block ×3, first 2 shown]
/******************************************/
/* Begin setupNewTile, isPap=False           */
/******************************************/


/* global read addresses: work-group */

/* graWorkGroup mapping */


/* global read addresses: unroll assignment a */

/* v1 */


/* global read addresses: unroll assignment b */

/* v3 */


/* global read addresses: other free assignments */

/* s[sgprWorkGroup2] */


/* global read addresses: tile offsets a */

v_mov_b32 v4, v0                                   // groA0I_0
_v_add_co_u32 v5, vcc, 16, v4                      // groA0I_1 += LSCA
_v_add_co_u32 v6, vcc, 16, v5                      // groA0I_2 += LSCA
_v_add_co_u32 v7, vcc, 16, v6                      // groA0I_3 += LSCA
_v_add_co_u32 v8, vcc, 16, v7                      // groA0I_4 += LSCA


/* global read addresses: tile offsets b */

v_mov_b32 v9, v2                                   // groB1J_0


/* global read addresses: unroll offsets a */

v_mov_b32 v10, v1                                  // groAL_0
_v_add_co_u32 v11, vcc, 16, v10                    // groAL_1 + LSPA


/* global read addresses: unroll offsets b */

v_mov_b32 v12, v3                                  // groBL_0
_v_add_co_u32 v13, vcc, 4, v12                     // groBL_1 + LSPB
_v_add_co_u32 v14, vcc, 4, v13                     // groBL_2 + LSPB
_v_add_co_u32 v15, vcc, 4, v14                     // groBL_3 + LSPB
_v_add_co_u32 v16, vcc, 4, v15                     // groBL_4 + LSPB
_v_add_co_u32 v17, vcc, 4, v16                     // groBL_5 + LSPB
_v_add_co_u32 v18, vcc, 4, v17                     // groBL_6 + LSPB
_v_add_co_u32 v19, vcc, 4, v18                     // groBL_7 + LSPB


/* global read addresses: branch a */


	;; [unrolled: 1-line block ×3, first 2 shown]
/* global read addresses: branch b */



/* global read addresses: final offsets a */

GLOBAL_OFFSET_A vgprGlobalReadOffsetA+0,  4, 10, 20 // gROA_0_0_0_0
GLOBAL_OFFSET_A vgprGlobalReadOffsetA+1,  5, 10, 20 // gROA_1_0_0_0
GLOBAL_OFFSET_A vgprGlobalReadOffsetA+2,  6, 10, 20 // gROA_2_0_0_0
GLOBAL_OFFSET_A vgprGlobalReadOffsetA+3,  7, 10, 20 // gROA_3_0_0_0
GLOBAL_OFFSET_A vgprGlobalReadOffsetA+4,  8, 10, 20 // gROA_4_0_0_0
GLOBAL_OFFSET_A vgprGlobalReadOffsetA+5,  4, 11, 20 // gROA_0_0_1_0
GLOBAL_OFFSET_A vgprGlobalReadOffsetA+6,  5, 11, 20 // gROA_1_0_1_0
GLOBAL_OFFSET_A vgprGlobalReadOffsetA+7,  6, 11, 20 // gROA_2_0_1_0
GLOBAL_OFFSET_A vgprGlobalReadOffsetA+8,  7, 11, 20 // gROA_3_0_1_0
GLOBAL_OFFSET_A vgprGlobalReadOffsetA+9,  8, 11, 20 // gROA_4_0_1_0


/* global read addresses: final offsets b */

GLOBAL_OFFSET_B vgprGlobalReadOffsetB+0,  9, 12, 4 // gROB_0_0_0_0
GLOBAL_OFFSET_B vgprGlobalReadOffsetB+1,  9, 13, 4 // gROB_0_0_1_0
GLOBAL_OFFSET_B vgprGlobalReadOffsetB+2,  9, 14, 4 // gROB_0_0_2_0
GLOBAL_OFFSET_B vgprGlobalReadOffsetB+3,  9, 15, 4 // gROB_0_0_3_0
GLOBAL_OFFSET_B vgprGlobalReadOffsetB+4,  9, 16, 4 // gROB_0_0_4_0
GLOBAL_OFFSET_B vgprGlobalReadOffsetB+5,  9, 17, 4 // gROB_0_0_5_0
GLOBAL_OFFSET_B vgprGlobalReadOffsetB+6,  9, 18, 4 // gROB_0_0_6_0
GLOBAL_OFFSET_B vgprGlobalReadOffsetB+7,  9, 19, 4 // gROB_0_0_7_0


/* global read addresses: addresses a */

/* max read offset = size[n] * stride[n-1] */
s_mul_hi_u32 s35, s[sgprWorkGroup0], 80            // WorkGroup[01] * MT
s_mul_i32 s34, s[sgprWorkGroup0], 80               // WorkGroup[01] * MT
s_sub_u32 s[sgprShadowLimitA+0], s[sgprTensor2dSizeA], s34 // sub tileStart
s_subb_u32 s[sgprShadowLimitA+1], s[sgprTensor2dSizeA+1], s35 // sub tileStart
s_lshl_b64 s[sgprShadowLimitA:sgprShadowLimitA+1], s[sgprShadowLimitA:sgprShadowLimitA+1], 0x4 // Set limit to use bytes
s_add_u32 s[sgprShadowLimitA+0], s[sgprShadowLimitA+0], 16 // extend limit for pre-pad
s_addc_u32 s[sgprShadowLimitA+1], s[sgprShadowLimitA+1], 0 // extend limit for pre-pad
s_cmp_eq_u32 s[sgprShadowLimitA+1], 0              // are we within 2^32?
s_cselect_b32 s[sgprSrdA+2], s[sgprShadowLimitA+0], BufferLimitA // Move shadow to real if we are within 2^32
s_mul_hi_u32 s33, s[sgprStrideAK], s[sgprWorkGroup2] // Stride*WG
s_mul_i32 s32, s[sgprStrideAK], s[sgprWorkGroup2]  // Stride*WG
s_add_u32 s34, s34, s32                            // accum wg term to tilestart
s_addc_u32 s35, s35, s33                           // accum wg term to tilestart
s_lshl_b64 s[34:35], s[34:35], 0x4                 // tileStart *= BPE
s_add_u32 s[sgprSrdA+0], s[sgprSrdA+0], s34        // SRD base = Address+ tileStart0
s_addc_u32 s[sgprSrdA+1], s[sgprSrdA+1], s35       // SRD base = Address+ tileStart1
s_mov_b32 s[sgprSrdA+3], Srd127_96                 // Set bits 127_96 in SRD


/* global read addresses: addresses b */

/* max read offset = size[n] * stride[n-1] */
s_mul_hi_u32 s35, s[sgprWorkGroup1], 64            // WorkGroup[01] * MT
s_mul_i32 s34, s[sgprWorkGroup1], 64               // WorkGroup[01] * MT
s_sub_u32 s[sgprShadowLimitB+0], s[sgprTensor2dSizeB], s34 // sub tileStart
s_subb_u32 s[sgprShadowLimitB+1], s[sgprTensor2dSizeB+1], s35 // sub tileStart
s_lshl_b64 s[sgprShadowLimitB:sgprShadowLimitB+1], s[sgprShadowLimitB:sgprShadowLimitB+1], 0x4 // Set limit to use bytes
s_add_u32 s[sgprShadowLimitB+0], s[sgprShadowLimitB+0], 16 // extend limit for pre-pad
s_addc_u32 s[sgprShadowLimitB+1], s[sgprShadowLimitB+1], 0 // extend limit for pre-pad
s_cmp_eq_u32 s[sgprShadowLimitB+1], 0              // are we within 2^32?
s_cselect_b32 s[sgprSrdB+2], s[sgprShadowLimitB+0], BufferLimitB // Move shadow to real if we are within 2^32
s_mul_hi_u32 s33, s[sgprStrideBK], s[sgprWorkGroup2] // Stride*WG
s_mul_i32 s32, s[sgprStrideBK], s[sgprWorkGroup2]  // Stride*WG
s_add_u32 s34, s34, s32                            // accum wg term to tilestart
s_addc_u32 s35, s35, s33                           // accum wg term to tilestart
s_lshl_b64 s[34:35], s[34:35], 0x4                 // tileStart *= BPE
s_add_u32 s[sgprSrdB+0], s[sgprSrdB+0], s34        // SRD base = Address+ tileStart0
s_addc_u32 s[sgprSrdB+1], s[sgprSrdB+1], s35       // SRD base = Address+ tileStart1
s_mov_b32 s[sgprSrdB+3], Srd127_96                 // Set bits 127_96 in SRD


/* global read addresses: increments a */

s_mul_i32 s[sgprGlobalReadIncsA+0], DepthU*BpeA, s[sgprStrideAL] // incrA unrollIdx)


/* global read addresses: increments b */

s_mul_i32 s[sgprGlobalReadIncsB+0], DepthU*BpeB, s[sgprStrideBL] // incrB unrollIdx)

/* declare loop num iterations */


s_add_i32 s[sgprLoopCounterL], 31, s[sgprSizesSum+0] // round up SizeSum / DepthU
s_lshr_b32 s[sgprLoopCounterL], s[sgprLoopCounterL], 5 // s[sgprLoopCounterL] = s[sgprLoopCounterL] / 32
s_mov_b32 s[sgprOrigLoopCounter], s[sgprLoopCounterL] // copy loop counter

/* local read addresses: init pointers a */


/* localReadInitPointers */

/* local read addresses: init pointers b */


	;; [unrolled: 1-line block ×3, first 2 shown]
/* prefetch: global -> local */

s_cmp_eq_u32 s[sgprLoopCounterL], 0                // at last iteration?
s_cbranch_scc1 ShadowInitStart_10                  // skip to ShadowInitStart iter b/c numIter==0


_buffer_load_b128 v[vgprG2LA+0:vgprG2LA+0+3], v[vgprGlobalReadOffsetA+0], s[sgprSrdA:sgprSrdA+3], 0, offen offset:0 // G -> Reg 0_0_0_0
_buffer_load_b128 v[vgprG2LA+4:vgprG2LA+4+3], v[vgprGlobalReadOffsetA+1], s[sgprSrdA:sgprSrdA+3], 0, offen offset:0 // G -> Reg 1_0_0_0
_buffer_load_b128 v[vgprG2LA+8:vgprG2LA+8+3], v[vgprGlobalReadOffsetA+2], s[sgprSrdA:sgprSrdA+3], 0, offen offset:0 // G -> Reg 2_0_0_0
_buffer_load_b128 v[vgprG2LA+12:vgprG2LA+12+3], v[vgprGlobalReadOffsetA+3], s[sgprSrdA:sgprSrdA+3], 0, offen offset:0 // G -> Reg 3_0_0_0
_buffer_load_b128 v[vgprG2LA+16:vgprG2LA+16+3], v[vgprGlobalReadOffsetA+4], s[sgprSrdA:sgprSrdA+3], 0, offen offset:0 // G -> Reg 4_0_0_0
_buffer_load_b128 v[vgprG2LA+20:vgprG2LA+20+3], v[vgprGlobalReadOffsetA+5], s[sgprSrdA:sgprSrdA+3], 0, offen offset:0 // G -> Reg 0_0_1_0
_buffer_load_b128 v[vgprG2LA+24:vgprG2LA+24+3], v[vgprGlobalReadOffsetA+6], s[sgprSrdA:sgprSrdA+3], 0, offen offset:0 // G -> Reg 1_0_1_0
_buffer_load_b128 v[vgprG2LA+28:vgprG2LA+28+3], v[vgprGlobalReadOffsetA+7], s[sgprSrdA:sgprSrdA+3], 0, offen offset:0 // G -> Reg 2_0_1_0
_buffer_load_b128 v[vgprG2LA+32:vgprG2LA+32+3], v[vgprGlobalReadOffsetA+8], s[sgprSrdA:sgprSrdA+3], 0, offen offset:0 // G -> Reg 3_0_1_0
_buffer_load_b128 v[vgprG2LA+36:vgprG2LA+36+3], v[vgprGlobalReadOffsetA+9], s[sgprSrdA:sgprSrdA+3], 0, offen offset:0 // G -> Reg 4_0_1_0


_buffer_load_b128 v[vgprG2LB0+0:vgprG2LB0+0+3], v[vgprGlobalReadOffsetB+0], s[sgprSrdB:sgprSrdB+3], 0, offen offset:0 // G -> Reg 0_0_0_0
_buffer_load_b128 v[vgprG2LB0+4:vgprG2LB0+4+3], v[vgprGlobalReadOffsetB+1], s[sgprSrdB:sgprSrdB+3], 0, offen offset:0 // G -> Reg 0_0_1_0
_buffer_load_b128 v[vgprG2LB0+8:vgprG2LB0+8+3], v[vgprGlobalReadOffsetB+2], s[sgprSrdB:sgprSrdB+3], 0, offen offset:0 // G -> Reg 0_0_2_0
_buffer_load_b128 v[vgprG2LB0+12:vgprG2LB0+12+3], v[vgprGlobalReadOffsetB+3], s[sgprSrdB:sgprSrdB+3], 0, offen offset:0 // G -> Reg 0_0_3_0
_buffer_load_b128 v[vgprG2LB0+16:vgprG2LB0+16+3], v[vgprGlobalReadOffsetB+4], s[sgprSrdB:sgprSrdB+3], 0, offen offset:0 // G -> Reg 0_0_4_0
_buffer_load_b128 v[vgprG2LB0+20:vgprG2LB0+20+3], v[vgprGlobalReadOffsetB+5], s[sgprSrdB:sgprSrdB+3], 0, offen offset:0 // G -> Reg 0_0_5_0
_buffer_load_b128 v[vgprG2LB0+24:vgprG2LB0+24+3], v[vgprGlobalReadOffsetB+6], s[sgprSrdB:sgprSrdB+3], 0, offen offset:0 // G -> Reg 0_0_6_0
_buffer_load_b128 v[vgprG2LB0+28:vgprG2LB0+28+3], v[vgprGlobalReadOffsetB+7], s[sgprSrdB:sgprSrdB+3], 0, offen offset:0 // G -> Reg 0_0_7_0


/* global read inc A loopL */
s_add_u32 s[sgprSrdA+0], s[sgprSrdA+0], s[sgprGlobalReadIncsA+0] // gra SRD += inc(lower)
s_addc_u32  s[sgprSrdA+1], s[sgprSrdA+1], 0        // gra SRD += inc(upper)
s_sub_u32 s[sgprShadowLimitA+0], s[sgprShadowLimitA+0], s[sgprGlobalReadIncsA+0] // limit -= inc)
s_subb_u32 s[sgprShadowLimitA+1], s[sgprShadowLimitA+1], 0 // limit -= inc)
s_cmp_eq_u32 s[sgprShadowLimitA+1], 0              // are we within 2^32?
s_cmov_b32 s[sgprSrdA+2], s[sgprShadowLimitA+0]    // Move shadow to real if we are within 2^32

/* global read inc B loopL */
s_add_u32 s[sgprSrdB+0], s[sgprSrdB+0], s[sgprGlobalReadIncsB+0] // gra SRD += inc(lower)
s_addc_u32  s[sgprSrdB+1], s[sgprSrdB+1], 0        // gra SRD += inc(upper)
s_sub_u32 s[sgprShadowLimitB+0], s[sgprShadowLimitB+0], s[sgprGlobalReadIncsB+0] // limit -= inc)
s_subb_u32 s[sgprShadowLimitB+1], s[sgprShadowLimitB+1], 0 // limit -= inc)
s_cmp_eq_u32 s[sgprShadowLimitB+1], 0              // are we within 2^32?
s_cmov_b32 s[sgprSrdB+2], s[sgprShadowLimitB+0]    // Move shadow to real if we are within 2^32


/******************************************/
/* End setupNewTile, isPap=False             */
/******************************************/

ShadowInitStart_10: // 

s_mov_b32 s[sgprSrdD+2], BufferOOB                 // 
s_mov_b32 s[sgprSrdD+3], Srd127_96                 // Set bits 127_96 in post-loop SRD

s_mov_b32 s[sgprSrdC+2], BufferOOB                 // 
s_mov_b32 s[sgprSrdC+3], Srd127_96                 // Set bits 127_96 in post-loop SRD


s_mul_i32 s34, MT1, s[sgprWorkGroup1]              // <- wg1*MT1
s_mul_hi_u32 s33, s34, s[sgprStrideC1J]            // CScale s34 by Stride
s_mul_i32 s32, s34, s[sgprStrideC1J]               // CScale s34 by Stride
s_lshl_b64 s[32:33], s[32:33], 4                   // scale by bpe
s_add_u32 s[sgprSrdC+0], s[sgprSrdC+0], s32        // add lo to SRD
s_addc_u32 s[sgprSrdC+1], s[sgprSrdC+1], s33       // add hi to SRD
s_mul_hi_u32 s33, s34, s[sgprStrideD1J]            // Scale s34 by Stride
s_mul_i32 s32, s34, s[sgprStrideD1J]               // Scale s34 by Stride
s_lshl_b64 s[32:33], s[32:33], 4                   // scale by bpe
s_add_u32 s[sgprSrdD+0], s[sgprSrdD+0], s32        // add lo to SRD
s_addc_u32 s[sgprSrdD+1], s[sgprSrdD+1], s33       // add hi to SRD

s_mul_hi_u32 s33, s[sgprWorkGroup2], s[sgprStrideCK] // CScale s[sgprWorkGroup2] by Stride
s_mul_i32 s32, s[sgprWorkGroup2], s[sgprStrideCK]  // CScale s[sgprWorkGroup2] by Stride
s_lshl_b64 s[32:33], s[32:33], 4                   // scale by bpe
s_add_u32 s[sgprSrdC+0], s[sgprSrdC+0], s32        // add lo to SRD
s_addc_u32 s[sgprSrdC+1], s[sgprSrdC+1], s33       // add hi to SRD
s_mul_hi_u32 s33, s[sgprWorkGroup2], s[sgprStrideDK] // Scale s[sgprWorkGroup2] by Stride
s_mul_i32 s32, s[sgprWorkGroup2], s[sgprStrideDK]  // Scale s[sgprWorkGroup2] by Stride
s_lshl_b64 s[32:33], s[32:33], 4                   // scale by bpe
s_add_u32 s[sgprSrdD+0], s[sgprSrdD+0], s32        // add lo to SRD
s_addc_u32 s[sgprSrdD+1], s[sgprSrdD+1], s33       // add hi to SRD


	;; [unrolled: 1-line block ×3, first 2 shown]
/* initC: remove C-tile 0-80 from pool */

/* initC: remove AB-tile 80-120 from pool */
v_mov_b64 v[vgprValuC+0:vgprValuC+0+1], 0x0        // initC
v_mov_b64 v[vgprValuC+2:vgprValuC+2+1], 0x0        // initC
	;; [unrolled: 1-line block ×5, first 2 shown]
v_mov_b64 v[vgprValuC+10:vgprValuC+10+1], 0x0      // initC
v_mov_b64 v[vgprValuC+12:vgprValuC+12+1], 0x0      // initC
	;; [unrolled: 1-line block ×35, first 2 shown]

s_cmp_eq_u32 s[sgprLoopCounterL], 0                // at last iteration?

/* after InitC, skip to end of prefetch last iter if numIter==0 */
s_cbranch_scc0 label_NoBranch_11                   // Only branch on scc1
s_getpc_B64 s[32:33]                               // addr of next instr
s_add_i32 s34, PrefetchGlobalLastIterEnd_5, 0x4    // target branch offset
s_add_u32 s32, s32, s34                            // add target branch offset
s_addc_u32 s33, s33, 0                             // add high and carry
s_setpc_b64 s[32:33]                               // branch to PrefetchGlobalLastIterEnd_5
label_NoBranch_11:

s_waitcnt vmcnt(8)                                 // lgkmcnt=-1 vmcnt=8 8wait for global read


/* local write a */
_ds_store_b128 v[vgprLocalWriteAddrA], v[vgprG2LA+0:vgprG2LA+0+3] offset:0 // lwoA_0_0_0_0 = (0*LSCA) + (0*LSPA)(*MT0I+PAD) = 0
_ds_store_b128 v[vgprLocalWriteAddrA], v[vgprG2LA+4:vgprG2LA+4+3] offset:256 // lwoA_1_0_0_0 = (1*LSCA) + (0*LSPA)(*MT0I+PAD) = 256
_ds_store_b128 v[vgprLocalWriteAddrA], v[vgprG2LA+8:vgprG2LA+8+3] offset:512 // lwoA_2_0_0_0 = (2*LSCA) + (0*LSPA)(*MT0I+PAD) = 512
_ds_store_b128 v[vgprLocalWriteAddrA], v[vgprG2LA+12:vgprG2LA+12+3] offset:768 // lwoA_3_0_0_0 = (3*LSCA) + (0*LSPA)(*MT0I+PAD) = 768
_ds_store_b128 v[vgprLocalWriteAddrA], v[vgprG2LA+16:vgprG2LA+16+3] offset:1024 // lwoA_4_0_0_0 = (4*LSCA) + (0*LSPA)(*MT0I+PAD) = 1024
_ds_store_b128 v[vgprLocalWriteAddrA], v[vgprG2LA+20:vgprG2LA+20+3] offset:20480 // lwoA_0_0_1_0 = (0*LSCA) + (1*LSPA)(*MT0I+PAD) = 20480
_ds_store_b128 v[vgprLocalWriteAddrA], v[vgprG2LA+24:vgprG2LA+24+3] offset:20736 // lwoA_1_0_1_0 = (1*LSCA) + (1*LSPA)(*MT0I+PAD) = 20736
_ds_store_b128 v[vgprLocalWriteAddrA], v[vgprG2LA+28:vgprG2LA+28+3] offset:20992 // lwoA_2_0_1_0 = (2*LSCA) + (1*LSPA)(*MT0I+PAD) = 20992
_ds_store_b128 v[vgprLocalWriteAddrA], v[vgprG2LA+32:vgprG2LA+32+3] offset:21248 // lwoA_3_0_1_0 = (3*LSCA) + (1*LSPA)(*MT0I+PAD) = 21248
_ds_store_b128 v[vgprLocalWriteAddrA], v[vgprG2LA+36:vgprG2LA+36+3] offset:21504 // lwoA_4_0_1_0 = (4*LSCA) + (1*LSPA)(*MT0I+PAD) = 21504

/* local write b */


/* local write swap a */


	;; [unrolled: 1-line block ×3, first 2 shown]
/* local write swap b */


	;; [unrolled: 1-line block ×4, first 2 shown]
s_cmp_eq_u32 s[sgprLoopCounterL] 0x1               // PGR=2 but only 1 loop
s_cbranch_scc1 label_0012                          // PGR=2 but only 1 loop


_buffer_load_b128 v[vgprG2LA+0:vgprG2LA+0+3], v[vgprGlobalReadOffsetA+0], s[sgprSrdA:sgprSrdA+3], 0, offen offset:0 // G -> Reg 0_0_0_0
_buffer_load_b128 v[vgprG2LA+4:vgprG2LA+4+3], v[vgprGlobalReadOffsetA+1], s[sgprSrdA:sgprSrdA+3], 0, offen offset:0 // G -> Reg 1_0_0_0
_buffer_load_b128 v[vgprG2LA+8:vgprG2LA+8+3], v[vgprGlobalReadOffsetA+2], s[sgprSrdA:sgprSrdA+3], 0, offen offset:0 // G -> Reg 2_0_0_0
_buffer_load_b128 v[vgprG2LA+12:vgprG2LA+12+3], v[vgprGlobalReadOffsetA+3], s[sgprSrdA:sgprSrdA+3], 0, offen offset:0 // G -> Reg 3_0_0_0
_buffer_load_b128 v[vgprG2LA+16:vgprG2LA+16+3], v[vgprGlobalReadOffsetA+4], s[sgprSrdA:sgprSrdA+3], 0, offen offset:0 // G -> Reg 4_0_0_0
_buffer_load_b128 v[vgprG2LA+20:vgprG2LA+20+3], v[vgprGlobalReadOffsetA+5], s[sgprSrdA:sgprSrdA+3], 0, offen offset:0 // G -> Reg 0_0_1_0
_buffer_load_b128 v[vgprG2LA+24:vgprG2LA+24+3], v[vgprGlobalReadOffsetA+6], s[sgprSrdA:sgprSrdA+3], 0, offen offset:0 // G -> Reg 1_0_1_0
_buffer_load_b128 v[vgprG2LA+28:vgprG2LA+28+3], v[vgprGlobalReadOffsetA+7], s[sgprSrdA:sgprSrdA+3], 0, offen offset:0 // G -> Reg 2_0_1_0
_buffer_load_b128 v[vgprG2LA+32:vgprG2LA+32+3], v[vgprGlobalReadOffsetA+8], s[sgprSrdA:sgprSrdA+3], 0, offen offset:0 // G -> Reg 3_0_1_0
_buffer_load_b128 v[vgprG2LA+36:vgprG2LA+36+3], v[vgprGlobalReadOffsetA+9], s[sgprSrdA:sgprSrdA+3], 0, offen offset:0 // G -> Reg 4_0_1_0


_buffer_load_b128 v[vgprG2LB1+0:vgprG2LB1+0+3], v[vgprGlobalReadOffsetB+0], s[sgprSrdB:sgprSrdB+3], 0, offen offset:0 // G -> Reg 0_0_0_0
_buffer_load_b128 v[vgprG2LB1+4:vgprG2LB1+4+3], v[vgprGlobalReadOffsetB+1], s[sgprSrdB:sgprSrdB+3], 0, offen offset:0 // G -> Reg 0_0_1_0
_buffer_load_b128 v[vgprG2LB1+8:vgprG2LB1+8+3], v[vgprGlobalReadOffsetB+2], s[sgprSrdB:sgprSrdB+3], 0, offen offset:0 // G -> Reg 0_0_2_0
_buffer_load_b128 v[vgprG2LB1+12:vgprG2LB1+12+3], v[vgprGlobalReadOffsetB+3], s[sgprSrdB:sgprSrdB+3], 0, offen offset:0 // G -> Reg 0_0_3_0
_buffer_load_b128 v[vgprG2LB1+16:vgprG2LB1+16+3], v[vgprGlobalReadOffsetB+4], s[sgprSrdB:sgprSrdB+3], 0, offen offset:0 // G -> Reg 0_0_4_0
_buffer_load_b128 v[vgprG2LB1+20:vgprG2LB1+20+3], v[vgprGlobalReadOffsetB+5], s[sgprSrdB:sgprSrdB+3], 0, offen offset:0 // G -> Reg 0_0_5_0
_buffer_load_b128 v[vgprG2LB1+24:vgprG2LB1+24+3], v[vgprGlobalReadOffsetB+6], s[sgprSrdB:sgprSrdB+3], 0, offen offset:0 // G -> Reg 0_0_6_0
_buffer_load_b128 v[vgprG2LB1+28:vgprG2LB1+28+3], v[vgprGlobalReadOffsetB+7], s[sgprSrdB:sgprSrdB+3], 0, offen offset:0 // G -> Reg 0_0_7_0

label_0012:                                        // 

s_waitcnt lgkmcnt(0)                               // lgkmcnt=0 vmcnt=-10prefetch wait for local write

// Skip force waitcnt0
s_barrier //


/* local read prefetch a */

_ds_load_b128 v[vgprValuA_X0_I0+0:vgprValuA_X0_I0+0+3], v[vgprLocalReadAddrA] offset:0 // L -> Reg lro=0 swapByteOffset=0 ti=16 vIdx=0 rIdx=0 oIdx=0 buffer=0 iui=0
_ds_load_b128 v[vgprValuA_X0_I0+4:vgprValuA_X0_I0+4+3], v[vgprLocalReadAddrA] offset:256 // L -> Reg lro=0 swapByteOffset=0 ti=16 vIdx=1 rIdx=0 oIdx=0 buffer=0 iui=0
	;; [unrolled: 1-line block ×5, first 2 shown]


/* local read prefetch b */


	;; [unrolled: 1-line block ×3, first 2 shown]
/* local read inc a */

/* N/A, lro->320 */
/* self.localReadDoCntA 1 self.localReadDoCntB 1 */


/* local read inc b */


	;; [unrolled: 1-line block ×4, first 2 shown]
/******************************************/
/* Unrolled Loop(s) - Begin               */
/******************************************/

openLoopL_13:
s_cmp_eq_u32 s[sgprLoopCounterL], 0x1              // LoopCounterL < EndCounter
s_cbranch_scc1 label_0014                          // PGR=2 but only 1 loop, toPGR1
s_cmp_le_u32 s[sgprLoopCounterL], 0x2              // LoopCounterL < EndCounter
s_cbranch_scc1 LoopEndL_evenexit_4                 // do not enter LoopL
LoopBeginL_1:


/******************************************/
/* Unrolled Loop 1/2 - Begin              */
/******************************************/

label_0015: // LoopCopy1 


/* Begin Each Unroll: Check VGPR.checkin for INT8 LW */


	;; [unrolled: 1-line block ×3, first 2 shown]
/* iter 0 */

s_waitcnt vmcnt(25)                                // lgkmcnt=-1 vmcnt=25global read wait for DirectToVgpr

/*  grEndMfmaIndex:4, lwStartMfmaIndex:131, lwEndMfmaIndex:139  */
/*  numMfmaForLR:10, barrierMfmaIndex:149, LocalWritePerMfma:1.060 */
/*  mfmaIndex:0  */
s_waitcnt lgkmcnt(0)                               // lgkmcnt=0 vmcnt=-1wait for prior local read local write old=0, new=0 newLW=0 newLR=0
v_add_f64 v[246:247], -v[vgprValuA_X0_I0+0+0+0+2:vgprValuA_X0_I0+0+0+0+2+1], 0 // Ai=-Ai
v_mfma_f64_16x16x4_f64 v[0+0:7+0], v[vgprG2LB+0+0:vgprG2LB+0+0+1], v[vgprValuA_X0_I0+0+0+0:vgprValuA_X0_I0+0+0+0+1], v[0:7]
 // Cr += Ar*Br
/*  mfmaIndex:1  */
_ds_load_b128 v[vgprValuA_X1_I0+0:vgprValuA_X1_I0+0+3], v[vgprLocalReadAddrA] offset:5120 // L -> Reg lro=320 swapByteOffset=0 ti=16 vIdx=0 rIdx=0 oIdx=0 buffer=1 iui=0

/* global read inc A loopL */
s_add_u32 s[sgprSrdA+0], s[sgprSrdA+0], s[sgprGlobalReadIncsA+0] // gra SRD += inc(lower)
s_addc_u32  s[sgprSrdA+1], s[sgprSrdA+1], 0        // gra SRD += inc(upper)
s_sub_u32 s[sgprShadowLimitA+0], s[sgprShadowLimitA+0], s[sgprGlobalReadIncsA+0] // limit -= inc)
v_mfma_f64_16x16x4_f64 v[40+0:47+0], v[vgprG2LB+0+0:vgprG2LB+0+0+1], v[vgprValuA_X0_I0+0+0+0+2:vgprValuA_X0_I0+0+0+0+2+1], v[40:47]
 // Ci += Ai*Br
/*  mfmaIndex:2  */
_ds_load_b128 v[vgprValuA_X1_I0+4:vgprValuA_X1_I0+4+3], v[vgprLocalReadAddrA] offset:5376 // L -> Reg lro=320 swapByteOffset=0 ti=16 vIdx=1 rIdx=0 oIdx=0 buffer=1 iui=0
s_subb_u32 s[sgprShadowLimitA+1], s[sgprShadowLimitA+1], 0 // limit -= inc)
s_cmp_eq_u32 s[sgprShadowLimitA+1], 0              // are we within 2^32?
s_cmov_b32 s[sgprSrdA+2], s[sgprShadowLimitA+0]    // Move shadow to real if we are within 2^32
v_mfma_f64_16x16x4_f64 v[0+0:7+0], v[vgprG2LB+0+0+2:vgprG2LB+0+0+2+1], v[246:247], v[0:7]
 // Cr += -Ai*Bi
/*  mfmaIndex:3  */
_ds_load_b128 v[vgprValuA_X1_I0+8:vgprValuA_X1_I0+8+3], v[vgprLocalReadAddrA] offset:5632 // L -> Reg lro=320 swapByteOffset=0 ti=16 vIdx=2 rIdx=0 oIdx=0 buffer=1 iui=0

/* global read inc B loopL */
s_add_u32 s[sgprSrdB+0], s[sgprSrdB+0], s[sgprGlobalReadIncsB+0] // gra SRD += inc(lower)
s_addc_u32  s[sgprSrdB+1], s[sgprSrdB+1], 0        // gra SRD += inc(upper)
s_sub_u32 s[sgprShadowLimitB+0], s[sgprShadowLimitB+0], s[sgprGlobalReadIncsB+0] // limit -= inc)
v_mfma_f64_16x16x4_f64 v[40+0:47+0], v[vgprG2LB+0+0+2:vgprG2LB+0+0+2+1], v[vgprValuA_X0_I0+0+0+0:vgprValuA_X0_I0+0+0+0+1], v[40:47]
 // Ci += Ar*Bi
/*  mfmaIndex:4  */
_ds_load_b128 v[vgprValuA_X1_I0+12:vgprValuA_X1_I0+12+3], v[vgprLocalReadAddrA] offset:5888 // L -> Reg lro=320 swapByteOffset=0 ti=16 vIdx=3 rIdx=0 oIdx=0 buffer=1 iui=0
s_subb_u32 s[sgprShadowLimitB+1], s[sgprShadowLimitB+1], 0 // limit -= inc)
s_cmp_eq_u32 s[sgprShadowLimitB+1], 0              // are we within 2^32?
s_cmov_b32 s[sgprSrdB+2], s[sgprShadowLimitB+0]    // Move shadow to real if we are within 2^32
v_add_f64 v[246:247], -v[vgprValuA_X0_I0+4+0+0+2:vgprValuA_X0_I0+4+0+0+2+1], 0 // Ai=-Ai
v_mfma_f64_16x16x4_f64 v[8+0:15+0], v[vgprG2LB+0+0:vgprG2LB+0+0+1], v[vgprValuA_X0_I0+4+0+0:vgprValuA_X0_I0+4+0+0+1], v[8:15]
 // Cr += Ar*Br
/*  mfmaIndex:5  */
_ds_load_b128 v[vgprValuA_X1_I0+16:vgprValuA_X1_I0+16+3], v[vgprLocalReadAddrA] offset:6144 // L -> Reg lro=320 swapByteOffset=0 ti=16 vIdx=4 rIdx=0 oIdx=0 buffer=1 iui=0
/* localReadsVacancy: latencyLeft 1 */
v_mfma_f64_16x16x4_f64 v[48+0:55+0], v[vgprG2LB+0+0:vgprG2LB+0+0+1], v[vgprValuA_X0_I0+4+0+0+2:vgprValuA_X0_I0+4+0+0+2+1], v[48:55]
 // Ci += Ai*Br
/*  mfmaIndex:6  */
/* localReadsVacancy: latencyLeft 5 */
v_mfma_f64_16x16x4_f64 v[8+0:15+0], v[vgprG2LB+0+0+2:vgprG2LB+0+0+2+1], v[246:247], v[8:15]
 // Cr += -Ai*Bi
/*  mfmaIndex:7  */
/* localReadsVacancy: latencyLeft 5 */
v_mfma_f64_16x16x4_f64 v[48+0:55+0], v[vgprG2LB+0+0+2:vgprG2LB+0+0+2+1], v[vgprValuA_X0_I0+4+0+0:vgprValuA_X0_I0+4+0+0+1], v[48:55]
 // Ci += Ar*Bi
/*  mfmaIndex:8  */
/* localReadsVacancy: latencyLeft 5 */
v_add_f64 v[246:247], -v[vgprValuA_X0_I0+8+0+0+2:vgprValuA_X0_I0+8+0+0+2+1], 0 // Ai=-Ai
v_mfma_f64_16x16x4_f64 v[16+0:23+0], v[vgprG2LB+0+0:vgprG2LB+0+0+1], v[vgprValuA_X0_I0+8+0+0:vgprValuA_X0_I0+8+0+0+1], v[16:23]
 // Cr += Ar*Br
/*  mfmaIndex:9  */
/* localReadsVacancy: latencyLeft 5 */
v_mfma_f64_16x16x4_f64 v[56+0:63+0], v[vgprG2LB+0+0:vgprG2LB+0+0+1], v[vgprValuA_X0_I0+8+0+0+2:vgprValuA_X0_I0+8+0+0+2+1], v[56:63]
 // Ci += Ai*Br
/*  mfmaIndex:10  */
/* localReadsVacancy: latencyLeft 5 */
v_mfma_f64_16x16x4_f64 v[16+0:23+0], v[vgprG2LB+0+0+2:vgprG2LB+0+0+2+1], v[246:247], v[16:23]
 // Cr += -Ai*Bi
/*  mfmaIndex:11  */
/* localReadsVacancy: latencyLeft 5 */
v_mfma_f64_16x16x4_f64 v[56+0:63+0], v[vgprG2LB+0+0+2:vgprG2LB+0+0+2+1], v[vgprValuA_X0_I0+8+0+0:vgprValuA_X0_I0+8+0+0+1], v[56:63]
 // Ci += Ar*Bi
/*  mfmaIndex:12  */
/* localReadsVacancy: latencyLeft 5 */
v_add_f64 v[246:247], -v[vgprValuA_X0_I0+12+0+0+2:vgprValuA_X0_I0+12+0+0+2+1], 0 // Ai=-Ai
v_mfma_f64_16x16x4_f64 v[24+0:31+0], v[vgprG2LB+0+0:vgprG2LB+0+0+1], v[vgprValuA_X0_I0+12+0+0:vgprValuA_X0_I0+12+0+0+1], v[24:31]
 // Cr += Ar*Br
/*  mfmaIndex:13  */
	;; [unrolled: 17-line block ×3, first 2 shown]
/* localReadsVacancy: latencyLeft 5 */
v_mfma_f64_16x16x4_f64 v[72+0:79+0], v[vgprG2LB+0+0:vgprG2LB+0+0+1], v[vgprValuA_X0_I0+16+0+0+2:vgprValuA_X0_I0+16+0+0+2+1], v[72:79]
 // Ci += Ai*Br
/*  mfmaIndex:18  */
/* localReadsVacancy: latencyLeft 5 */
v_mfma_f64_16x16x4_f64 v[32+0:39+0], v[vgprG2LB+0+0+2:vgprG2LB+0+0+2+1], v[246:247], v[32:39]
 // Cr += -Ai*Bi
/*  mfmaIndex:19  */
/* localReadsVacancy: latencyLeft 5 */
v_mfma_f64_16x16x4_f64 v[72+0:79+0], v[vgprG2LB+0+0+2:vgprG2LB+0+0+2+1], v[vgprValuA_X0_I0+16+0+0:vgprValuA_X0_I0+16+0+0+1], v[72:79]
 // Ci += Ar*Bi
/* numPrefetchIter=0 */
/* dataAtIterA=-1 numReadsIterA=1 skipReadsIterA=1 readsPerIterA=5 */
/* dataAtIterB=-1 numReadsIterB=1 skipReadsIterB=1 readsPerIterB=1 */


/* iter 1 */

s_waitcnt vmcnt(24)                                // lgkmcnt=-1 vmcnt=24global read wait for DirectToVgpr

/*  grEndMfmaIndex:4, lwStartMfmaIndex:131, lwEndMfmaIndex:139  */
/*  numMfmaForLR:10, barrierMfmaIndex:149, LocalWritePerMfma:1.060 */
/*  mfmaIndex:20  */
_ds_load_b128 v[vgprValuA_X0_I0+0:vgprValuA_X0_I0+0+3], v[vgprLocalReadAddrA] offset:10240 // L -> Reg lro=640 swapByteOffset=0 ti=16 vIdx=0 rIdx=0 oIdx=0 buffer=0 iui=0
s_waitcnt lgkmcnt(1)                               // lgkmcnt=0 vmcnt=-1wait for prior local read local write old=0, new=1 newLW=0 newLR=1
v_add_f64 v[246:247], -v[vgprValuA_X1_I0+0+0+0+2:vgprValuA_X1_I0+0+0+0+2+1], 0 // Ai=-Ai
v_mfma_f64_16x16x4_f64 v[0+0:7+0], v[vgprG2LB+4+0:vgprG2LB+4+0+1], v[vgprValuA_X1_I0+0+0+0:vgprValuA_X1_I0+0+0+0+1], v[0:7]
 // Cr += Ar*Br
/*  mfmaIndex:21  */
_ds_load_b128 v[vgprValuA_X0_I0+4:vgprValuA_X0_I0+4+3], v[vgprLocalReadAddrA] offset:10496 // L -> Reg lro=640 swapByteOffset=0 ti=16 vIdx=1 rIdx=0 oIdx=0 buffer=0 iui=0
v_mfma_f64_16x16x4_f64 v[40+0:47+0], v[vgprG2LB+4+0:vgprG2LB+4+0+1], v[vgprValuA_X1_I0+0+0+0+2:vgprValuA_X1_I0+0+0+0+2+1], v[40:47]
 // Ci += Ai*Br
/*  mfmaIndex:22  */
_ds_load_b128 v[vgprValuA_X0_I0+8:vgprValuA_X0_I0+8+3], v[vgprLocalReadAddrA] offset:10752 // L -> Reg lro=640 swapByteOffset=0 ti=16 vIdx=2 rIdx=0 oIdx=0 buffer=0 iui=0
v_mfma_f64_16x16x4_f64 v[0+0:7+0], v[vgprG2LB+4+0+2:vgprG2LB+4+0+2+1], v[246:247], v[0:7]
 // Cr += -Ai*Bi
/*  mfmaIndex:23  */
_ds_load_b128 v[vgprValuA_X0_I0+12:vgprValuA_X0_I0+12+3], v[vgprLocalReadAddrA] offset:11008 // L -> Reg lro=640 swapByteOffset=0 ti=16 vIdx=3 rIdx=0 oIdx=0 buffer=0 iui=0
v_mfma_f64_16x16x4_f64 v[40+0:47+0], v[vgprG2LB+4+0+2:vgprG2LB+4+0+2+1], v[vgprValuA_X1_I0+0+0+0:vgprValuA_X1_I0+0+0+0+1], v[40:47]
 // Ci += Ar*Bi
/*  mfmaIndex:24  */
_ds_load_b128 v[vgprValuA_X0_I0+16:vgprValuA_X0_I0+16+3], v[vgprLocalReadAddrA] offset:11264 // L -> Reg lro=640 swapByteOffset=0 ti=16 vIdx=4 rIdx=0 oIdx=0 buffer=0 iui=0
/* localReadsVacancy: latencyLeft 1 */
v_add_f64 v[246:247], -v[vgprValuA_X1_I0+4+0+0+2:vgprValuA_X1_I0+4+0+0+2+1], 0 // Ai=-Ai
v_mfma_f64_16x16x4_f64 v[8+0:15+0], v[vgprG2LB+4+0:vgprG2LB+4+0+1], v[vgprValuA_X1_I0+4+0+0:vgprValuA_X1_I0+4+0+0+1], v[8:15]
 // Cr += Ar*Br
/*  mfmaIndex:25  */
/* localReadsVacancy: latencyLeft 5 */
v_mfma_f64_16x16x4_f64 v[48+0:55+0], v[vgprG2LB+4+0:vgprG2LB+4+0+1], v[vgprValuA_X1_I0+4+0+0+2:vgprValuA_X1_I0+4+0+0+2+1], v[48:55]
 // Ci += Ai*Br
/*  mfmaIndex:26  */
/* localReadsVacancy: latencyLeft 5 */
v_mfma_f64_16x16x4_f64 v[8+0:15+0], v[vgprG2LB+4+0+2:vgprG2LB+4+0+2+1], v[246:247], v[8:15]
 // Cr += -Ai*Bi
/*  mfmaIndex:27  */
/* localReadsVacancy: latencyLeft 5 */
v_mfma_f64_16x16x4_f64 v[48+0:55+0], v[vgprG2LB+4+0+2:vgprG2LB+4+0+2+1], v[vgprValuA_X1_I0+4+0+0:vgprValuA_X1_I0+4+0+0+1], v[48:55]
 // Ci += Ar*Bi
/*  mfmaIndex:28  */
/* localReadsVacancy: latencyLeft 5 */
v_add_f64 v[246:247], -v[vgprValuA_X1_I0+8+0+0+2:vgprValuA_X1_I0+8+0+0+2+1], 0 // Ai=-Ai
v_mfma_f64_16x16x4_f64 v[16+0:23+0], v[vgprG2LB+4+0:vgprG2LB+4+0+1], v[vgprValuA_X1_I0+8+0+0:vgprValuA_X1_I0+8+0+0+1], v[16:23]
 // Cr += Ar*Br
/*  mfmaIndex:29  */
/* localReadsVacancy: latencyLeft 5 */
v_mfma_f64_16x16x4_f64 v[56+0:63+0], v[vgprG2LB+4+0:vgprG2LB+4+0+1], v[vgprValuA_X1_I0+8+0+0+2:vgprValuA_X1_I0+8+0+0+2+1], v[56:63]
 // Ci += Ai*Br
/*  mfmaIndex:30  */
/* localReadsVacancy: latencyLeft 5 */
v_mfma_f64_16x16x4_f64 v[16+0:23+0], v[vgprG2LB+4+0+2:vgprG2LB+4+0+2+1], v[246:247], v[16:23]
 // Cr += -Ai*Bi
/*  mfmaIndex:31  */
/* localReadsVacancy: latencyLeft 5 */
v_mfma_f64_16x16x4_f64 v[56+0:63+0], v[vgprG2LB+4+0+2:vgprG2LB+4+0+2+1], v[vgprValuA_X1_I0+8+0+0:vgprValuA_X1_I0+8+0+0+1], v[56:63]
 // Ci += Ar*Bi
/*  mfmaIndex:32  */
	;; [unrolled: 17-line block ×3, first 2 shown]
/* localReadsVacancy: latencyLeft 5 */
v_add_f64 v[246:247], -v[vgprValuA_X1_I0+16+0+0+2:vgprValuA_X1_I0+16+0+0+2+1], 0 // Ai=-Ai
v_mfma_f64_16x16x4_f64 v[32+0:39+0], v[vgprG2LB+4+0:vgprG2LB+4+0+1], v[vgprValuA_X1_I0+16+0+0:vgprValuA_X1_I0+16+0+0+1], v[32:39]
 // Cr += Ar*Br
/*  mfmaIndex:37  */
/* localReadsVacancy: latencyLeft 5 */
v_mfma_f64_16x16x4_f64 v[72+0:79+0], v[vgprG2LB+4+0:vgprG2LB+4+0+1], v[vgprValuA_X1_I0+16+0+0+2:vgprValuA_X1_I0+16+0+0+2+1], v[72:79]
 // Ci += Ai*Br
/*  mfmaIndex:38  */
/* localReadsVacancy: latencyLeft 5 */
v_mfma_f64_16x16x4_f64 v[32+0:39+0], v[vgprG2LB+4+0+2:vgprG2LB+4+0+2+1], v[246:247], v[32:39]
 // Cr += -Ai*Bi
/*  mfmaIndex:39  */
/* localReadsVacancy: latencyLeft 5 */
v_mfma_f64_16x16x4_f64 v[72+0:79+0], v[vgprG2LB+4+0+2:vgprG2LB+4+0+2+1], v[vgprValuA_X1_I0+16+0+0:vgprValuA_X1_I0+16+0+0+1], v[72:79]
 // Ci += Ar*Bi
/* numPrefetchIter=0 */
/* dataAtIterA=0 numReadsIterA=2 skipReadsIterA=1 readsPerIterA=5 */
/* dataAtIterB=0 numReadsIterB=2 skipReadsIterB=1 readsPerIterB=1 */


/* iter 2 */

s_waitcnt vmcnt(23)                                // lgkmcnt=-1 vmcnt=23global read wait for DirectToVgpr

/*  grEndMfmaIndex:4, lwStartMfmaIndex:131, lwEndMfmaIndex:139  */
/*  numMfmaForLR:10, barrierMfmaIndex:149, LocalWritePerMfma:1.060 */
/*  mfmaIndex:40  */
_ds_load_b128 v[vgprValuA_X1_I0+0:vgprValuA_X1_I0+0+3], v[vgprLocalReadAddrA] offset:15360 // L -> Reg lro=960 swapByteOffset=0 ti=16 vIdx=0 rIdx=0 oIdx=0 buffer=1 iui=0
s_waitcnt lgkmcnt(1)                               // lgkmcnt=0 vmcnt=-1wait for prior local read local write old=0, new=1 newLW=0 newLR=1
v_add_f64 v[246:247], -v[vgprValuA_X0_I0+0+0+0+2:vgprValuA_X0_I0+0+0+0+2+1], 0 // Ai=-Ai
v_mfma_f64_16x16x4_f64 v[0+0:7+0], v[vgprG2LB+8+0:vgprG2LB+8+0+1], v[vgprValuA_X0_I0+0+0+0:vgprValuA_X0_I0+0+0+0+1], v[0:7]
 // Cr += Ar*Br
/*  mfmaIndex:41  */
_ds_load_b128 v[vgprValuA_X1_I0+4:vgprValuA_X1_I0+4+3], v[vgprLocalReadAddrA] offset:15616 // L -> Reg lro=960 swapByteOffset=0 ti=16 vIdx=1 rIdx=0 oIdx=0 buffer=1 iui=0
v_mfma_f64_16x16x4_f64 v[40+0:47+0], v[vgprG2LB+8+0:vgprG2LB+8+0+1], v[vgprValuA_X0_I0+0+0+0+2:vgprValuA_X0_I0+0+0+0+2+1], v[40:47]
 // Ci += Ai*Br
/*  mfmaIndex:42  */
_ds_load_b128 v[vgprValuA_X1_I0+8:vgprValuA_X1_I0+8+3], v[vgprLocalReadAddrA] offset:15872 // L -> Reg lro=960 swapByteOffset=0 ti=16 vIdx=2 rIdx=0 oIdx=0 buffer=1 iui=0
v_mfma_f64_16x16x4_f64 v[0+0:7+0], v[vgprG2LB+8+0+2:vgprG2LB+8+0+2+1], v[246:247], v[0:7]
 // Cr += -Ai*Bi
/*  mfmaIndex:43  */
_ds_load_b128 v[vgprValuA_X1_I0+12:vgprValuA_X1_I0+12+3], v[vgprLocalReadAddrA] offset:16128 // L -> Reg lro=960 swapByteOffset=0 ti=16 vIdx=3 rIdx=0 oIdx=0 buffer=1 iui=0
v_mfma_f64_16x16x4_f64 v[40+0:47+0], v[vgprG2LB+8+0+2:vgprG2LB+8+0+2+1], v[vgprValuA_X0_I0+0+0+0:vgprValuA_X0_I0+0+0+0+1], v[40:47]
 // Ci += Ar*Bi
/*  mfmaIndex:44  */
_ds_load_b128 v[vgprValuA_X1_I0+16:vgprValuA_X1_I0+16+3], v[vgprLocalReadAddrA] offset:16384 // L -> Reg lro=960 swapByteOffset=0 ti=16 vIdx=4 rIdx=0 oIdx=0 buffer=1 iui=0
/* localReadsVacancy: latencyLeft 1 */
v_add_f64 v[246:247], -v[vgprValuA_X0_I0+4+0+0+2:vgprValuA_X0_I0+4+0+0+2+1], 0 // Ai=-Ai
v_mfma_f64_16x16x4_f64 v[8+0:15+0], v[vgprG2LB+8+0:vgprG2LB+8+0+1], v[vgprValuA_X0_I0+4+0+0:vgprValuA_X0_I0+4+0+0+1], v[8:15]
 // Cr += Ar*Br
/*  mfmaIndex:45  */
/* localReadsVacancy: latencyLeft 5 */
v_mfma_f64_16x16x4_f64 v[48+0:55+0], v[vgprG2LB+8+0:vgprG2LB+8+0+1], v[vgprValuA_X0_I0+4+0+0+2:vgprValuA_X0_I0+4+0+0+2+1], v[48:55]
 // Ci += Ai*Br
/*  mfmaIndex:46  */
/* localReadsVacancy: latencyLeft 5 */
v_mfma_f64_16x16x4_f64 v[8+0:15+0], v[vgprG2LB+8+0+2:vgprG2LB+8+0+2+1], v[246:247], v[8:15]
 // Cr += -Ai*Bi
/*  mfmaIndex:47  */
/* localReadsVacancy: latencyLeft 5 */
v_mfma_f64_16x16x4_f64 v[48+0:55+0], v[vgprG2LB+8+0+2:vgprG2LB+8+0+2+1], v[vgprValuA_X0_I0+4+0+0:vgprValuA_X0_I0+4+0+0+1], v[48:55]
 // Ci += Ar*Bi
/*  mfmaIndex:48  */
/* localReadsVacancy: latencyLeft 5 */
v_add_f64 v[246:247], -v[vgprValuA_X0_I0+8+0+0+2:vgprValuA_X0_I0+8+0+0+2+1], 0 // Ai=-Ai
v_mfma_f64_16x16x4_f64 v[16+0:23+0], v[vgprG2LB+8+0:vgprG2LB+8+0+1], v[vgprValuA_X0_I0+8+0+0:vgprValuA_X0_I0+8+0+0+1], v[16:23]
 // Cr += Ar*Br
/*  mfmaIndex:49  */
/* localReadsVacancy: latencyLeft 5 */
v_mfma_f64_16x16x4_f64 v[56+0:63+0], v[vgprG2LB+8+0:vgprG2LB+8+0+1], v[vgprValuA_X0_I0+8+0+0+2:vgprValuA_X0_I0+8+0+0+2+1], v[56:63]
 // Ci += Ai*Br
/*  mfmaIndex:50  */
/* localReadsVacancy: latencyLeft 5 */
v_mfma_f64_16x16x4_f64 v[16+0:23+0], v[vgprG2LB+8+0+2:vgprG2LB+8+0+2+1], v[246:247], v[16:23]
 // Cr += -Ai*Bi
/*  mfmaIndex:51  */
/* localReadsVacancy: latencyLeft 5 */
v_mfma_f64_16x16x4_f64 v[56+0:63+0], v[vgprG2LB+8+0+2:vgprG2LB+8+0+2+1], v[vgprValuA_X0_I0+8+0+0:vgprValuA_X0_I0+8+0+0+1], v[56:63]
 // Ci += Ar*Bi
/*  mfmaIndex:52  */
	;; [unrolled: 17-line block ×3, first 2 shown]
/* localReadsVacancy: latencyLeft 5 */
v_add_f64 v[246:247], -v[vgprValuA_X0_I0+16+0+0+2:vgprValuA_X0_I0+16+0+0+2+1], 0 // Ai=-Ai
v_mfma_f64_16x16x4_f64 v[32+0:39+0], v[vgprG2LB+8+0:vgprG2LB+8+0+1], v[vgprValuA_X0_I0+16+0+0:vgprValuA_X0_I0+16+0+0+1], v[32:39]
 // Cr += Ar*Br
/*  mfmaIndex:57  */
/* localReadsVacancy: latencyLeft 5 */
v_mfma_f64_16x16x4_f64 v[72+0:79+0], v[vgprG2LB+8+0:vgprG2LB+8+0+1], v[vgprValuA_X0_I0+16+0+0+2:vgprValuA_X0_I0+16+0+0+2+1], v[72:79]
 // Ci += Ai*Br
/*  mfmaIndex:58  */
/* localReadsVacancy: latencyLeft 5 */
v_mfma_f64_16x16x4_f64 v[32+0:39+0], v[vgprG2LB+8+0+2:vgprG2LB+8+0+2+1], v[246:247], v[32:39]
 // Cr += -Ai*Bi
/*  mfmaIndex:59  */
/* localReadsVacancy: latencyLeft 5 */
v_mfma_f64_16x16x4_f64 v[72+0:79+0], v[vgprG2LB+8+0+2:vgprG2LB+8+0+2+1], v[vgprValuA_X0_I0+16+0+0:vgprValuA_X0_I0+16+0+0+1], v[72:79]
 // Ci += Ar*Bi
/* numPrefetchIter=0 */
/* dataAtIterA=1 numReadsIterA=3 skipReadsIterA=1 readsPerIterA=5 */
/* dataAtIterB=1 numReadsIterB=3 skipReadsIterB=1 readsPerIterB=1 */


/* iter 3 */

s_waitcnt vmcnt(22)                                // lgkmcnt=-1 vmcnt=22global read wait for DirectToVgpr

/*  grEndMfmaIndex:4, lwStartMfmaIndex:131, lwEndMfmaIndex:139  */
/*  numMfmaForLR:10, barrierMfmaIndex:149, LocalWritePerMfma:1.060 */
/*  mfmaIndex:60  */
_ds_load_b128 v[vgprValuA_X0_I0+0:vgprValuA_X0_I0+0+3], v[vgprLocalReadAddrA] offset:20480 // L -> Reg lro=1280 swapByteOffset=0 ti=16 vIdx=0 rIdx=0 oIdx=0 buffer=0 iui=0
s_waitcnt lgkmcnt(1)                               // lgkmcnt=0 vmcnt=-1wait for prior local read local write old=0, new=1 newLW=0 newLR=1
v_add_f64 v[246:247], -v[vgprValuA_X1_I0+0+0+0+2:vgprValuA_X1_I0+0+0+0+2+1], 0 // Ai=-Ai
v_mfma_f64_16x16x4_f64 v[0+0:7+0], v[vgprG2LB+12+0:vgprG2LB+12+0+1], v[vgprValuA_X1_I0+0+0+0:vgprValuA_X1_I0+0+0+0+1], v[0:7]
 // Cr += Ar*Br
/*  mfmaIndex:61  */
_ds_load_b128 v[vgprValuA_X0_I0+4:vgprValuA_X0_I0+4+3], v[vgprLocalReadAddrA] offset:20736 // L -> Reg lro=1280 swapByteOffset=0 ti=16 vIdx=1 rIdx=0 oIdx=0 buffer=0 iui=0
v_mfma_f64_16x16x4_f64 v[40+0:47+0], v[vgprG2LB+12+0:vgprG2LB+12+0+1], v[vgprValuA_X1_I0+0+0+0+2:vgprValuA_X1_I0+0+0+0+2+1], v[40:47]
 // Ci += Ai*Br
/*  mfmaIndex:62  */
_ds_load_b128 v[vgprValuA_X0_I0+8:vgprValuA_X0_I0+8+3], v[vgprLocalReadAddrA] offset:20992 // L -> Reg lro=1280 swapByteOffset=0 ti=16 vIdx=2 rIdx=0 oIdx=0 buffer=0 iui=0
v_mfma_f64_16x16x4_f64 v[0+0:7+0], v[vgprG2LB+12+0+2:vgprG2LB+12+0+2+1], v[246:247], v[0:7]
 // Cr += -Ai*Bi
/*  mfmaIndex:63  */
_ds_load_b128 v[vgprValuA_X0_I0+12:vgprValuA_X0_I0+12+3], v[vgprLocalReadAddrA] offset:21248 // L -> Reg lro=1280 swapByteOffset=0 ti=16 vIdx=3 rIdx=0 oIdx=0 buffer=0 iui=0
v_mfma_f64_16x16x4_f64 v[40+0:47+0], v[vgprG2LB+12+0+2:vgprG2LB+12+0+2+1], v[vgprValuA_X1_I0+0+0+0:vgprValuA_X1_I0+0+0+0+1], v[40:47]
 // Ci += Ar*Bi
/*  mfmaIndex:64  */
_ds_load_b128 v[vgprValuA_X0_I0+16:vgprValuA_X0_I0+16+3], v[vgprLocalReadAddrA] offset:21504 // L -> Reg lro=1280 swapByteOffset=0 ti=16 vIdx=4 rIdx=0 oIdx=0 buffer=0 iui=0
/* localReadsVacancy: latencyLeft 1 */
v_add_f64 v[246:247], -v[vgprValuA_X1_I0+4+0+0+2:vgprValuA_X1_I0+4+0+0+2+1], 0 // Ai=-Ai
v_mfma_f64_16x16x4_f64 v[8+0:15+0], v[vgprG2LB+12+0:vgprG2LB+12+0+1], v[vgprValuA_X1_I0+4+0+0:vgprValuA_X1_I0+4+0+0+1], v[8:15]
 // Cr += Ar*Br
/*  mfmaIndex:65  */
/* localReadsVacancy: latencyLeft 5 */
v_mfma_f64_16x16x4_f64 v[48+0:55+0], v[vgprG2LB+12+0:vgprG2LB+12+0+1], v[vgprValuA_X1_I0+4+0+0+2:vgprValuA_X1_I0+4+0+0+2+1], v[48:55]
 // Ci += Ai*Br
/*  mfmaIndex:66  */
/* localReadsVacancy: latencyLeft 5 */
v_mfma_f64_16x16x4_f64 v[8+0:15+0], v[vgprG2LB+12+0+2:vgprG2LB+12+0+2+1], v[246:247], v[8:15]
 // Cr += -Ai*Bi
/*  mfmaIndex:67  */
/* localReadsVacancy: latencyLeft 5 */
v_mfma_f64_16x16x4_f64 v[48+0:55+0], v[vgprG2LB+12+0+2:vgprG2LB+12+0+2+1], v[vgprValuA_X1_I0+4+0+0:vgprValuA_X1_I0+4+0+0+1], v[48:55]
 // Ci += Ar*Bi
/*  mfmaIndex:68  */
/* localReadsVacancy: latencyLeft 5 */
v_add_f64 v[246:247], -v[vgprValuA_X1_I0+8+0+0+2:vgprValuA_X1_I0+8+0+0+2+1], 0 // Ai=-Ai
v_mfma_f64_16x16x4_f64 v[16+0:23+0], v[vgprG2LB+12+0:vgprG2LB+12+0+1], v[vgprValuA_X1_I0+8+0+0:vgprValuA_X1_I0+8+0+0+1], v[16:23]
 // Cr += Ar*Br
/*  mfmaIndex:69  */
/* localReadsVacancy: latencyLeft 5 */
v_mfma_f64_16x16x4_f64 v[56+0:63+0], v[vgprG2LB+12+0:vgprG2LB+12+0+1], v[vgprValuA_X1_I0+8+0+0+2:vgprValuA_X1_I0+8+0+0+2+1], v[56:63]
 // Ci += Ai*Br
/*  mfmaIndex:70  */
/* localReadsVacancy: latencyLeft 5 */
v_mfma_f64_16x16x4_f64 v[16+0:23+0], v[vgprG2LB+12+0+2:vgprG2LB+12+0+2+1], v[246:247], v[16:23]
 // Cr += -Ai*Bi
/*  mfmaIndex:71  */
/* localReadsVacancy: latencyLeft 5 */
v_mfma_f64_16x16x4_f64 v[56+0:63+0], v[vgprG2LB+12+0+2:vgprG2LB+12+0+2+1], v[vgprValuA_X1_I0+8+0+0:vgprValuA_X1_I0+8+0+0+1], v[56:63]
 // Ci += Ar*Bi
/*  mfmaIndex:72  */
	;; [unrolled: 17-line block ×3, first 2 shown]
/* localReadsVacancy: latencyLeft 5 */
v_add_f64 v[246:247], -v[vgprValuA_X1_I0+16+0+0+2:vgprValuA_X1_I0+16+0+0+2+1], 0 // Ai=-Ai
v_mfma_f64_16x16x4_f64 v[32+0:39+0], v[vgprG2LB+12+0:vgprG2LB+12+0+1], v[vgprValuA_X1_I0+16+0+0:vgprValuA_X1_I0+16+0+0+1], v[32:39]
 // Cr += Ar*Br
/*  mfmaIndex:77  */
/* localReadsVacancy: latencyLeft 5 */
v_mfma_f64_16x16x4_f64 v[72+0:79+0], v[vgprG2LB+12+0:vgprG2LB+12+0+1], v[vgprValuA_X1_I0+16+0+0+2:vgprValuA_X1_I0+16+0+0+2+1], v[72:79]
 // Ci += Ai*Br
/*  mfmaIndex:78  */
/* localReadsVacancy: latencyLeft 5 */
v_mfma_f64_16x16x4_f64 v[32+0:39+0], v[vgprG2LB+12+0+2:vgprG2LB+12+0+2+1], v[246:247], v[32:39]
 // Cr += -Ai*Bi
/*  mfmaIndex:79  */
/* localReadsVacancy: latencyLeft 5 */
v_mfma_f64_16x16x4_f64 v[72+0:79+0], v[vgprG2LB+12+0+2:vgprG2LB+12+0+2+1], v[vgprValuA_X1_I0+16+0+0:vgprValuA_X1_I0+16+0+0+1], v[72:79]
 // Ci += Ar*Bi
/* numPrefetchIter=0 */
/* dataAtIterA=2 numReadsIterA=4 skipReadsIterA=1 readsPerIterA=5 */
/* dataAtIterB=2 numReadsIterB=4 skipReadsIterB=1 readsPerIterB=1 */


/* iter 4 */

s_waitcnt vmcnt(21)                                // lgkmcnt=-1 vmcnt=21global read wait for DirectToVgpr

/*  grEndMfmaIndex:4, lwStartMfmaIndex:131, lwEndMfmaIndex:139  */
/*  numMfmaForLR:10, barrierMfmaIndex:149, LocalWritePerMfma:1.060 */
/*  mfmaIndex:80  */
_ds_load_b128 v[vgprValuA_X1_I0+0:vgprValuA_X1_I0+0+3], v[vgprLocalReadAddrA] offset:25600 // L -> Reg lro=1600 swapByteOffset=0 ti=16 vIdx=0 rIdx=0 oIdx=0 buffer=1 iui=0
s_waitcnt lgkmcnt(1)                               // lgkmcnt=0 vmcnt=-1wait for prior local read local write old=0, new=1 newLW=0 newLR=1
v_add_f64 v[246:247], -v[vgprValuA_X0_I0+0+0+0+2:vgprValuA_X0_I0+0+0+0+2+1], 0 // Ai=-Ai
v_mfma_f64_16x16x4_f64 v[0+0:7+0], v[vgprG2LB+16+0:vgprG2LB+16+0+1], v[vgprValuA_X0_I0+0+0+0:vgprValuA_X0_I0+0+0+0+1], v[0:7]
 // Cr += Ar*Br
/*  mfmaIndex:81  */
_ds_load_b128 v[vgprValuA_X1_I0+4:vgprValuA_X1_I0+4+3], v[vgprLocalReadAddrA] offset:25856 // L -> Reg lro=1600 swapByteOffset=0 ti=16 vIdx=1 rIdx=0 oIdx=0 buffer=1 iui=0
v_mfma_f64_16x16x4_f64 v[40+0:47+0], v[vgprG2LB+16+0:vgprG2LB+16+0+1], v[vgprValuA_X0_I0+0+0+0+2:vgprValuA_X0_I0+0+0+0+2+1], v[40:47]
 // Ci += Ai*Br
/*  mfmaIndex:82  */
_ds_load_b128 v[vgprValuA_X1_I0+8:vgprValuA_X1_I0+8+3], v[vgprLocalReadAddrA] offset:26112 // L -> Reg lro=1600 swapByteOffset=0 ti=16 vIdx=2 rIdx=0 oIdx=0 buffer=1 iui=0
v_mfma_f64_16x16x4_f64 v[0+0:7+0], v[vgprG2LB+16+0+2:vgprG2LB+16+0+2+1], v[246:247], v[0:7]
 // Cr += -Ai*Bi
/*  mfmaIndex:83  */
_ds_load_b128 v[vgprValuA_X1_I0+12:vgprValuA_X1_I0+12+3], v[vgprLocalReadAddrA] offset:26368 // L -> Reg lro=1600 swapByteOffset=0 ti=16 vIdx=3 rIdx=0 oIdx=0 buffer=1 iui=0
v_mfma_f64_16x16x4_f64 v[40+0:47+0], v[vgprG2LB+16+0+2:vgprG2LB+16+0+2+1], v[vgprValuA_X0_I0+0+0+0:vgprValuA_X0_I0+0+0+0+1], v[40:47]
 // Ci += Ar*Bi
/*  mfmaIndex:84  */
_ds_load_b128 v[vgprValuA_X1_I0+16:vgprValuA_X1_I0+16+3], v[vgprLocalReadAddrA] offset:26624 // L -> Reg lro=1600 swapByteOffset=0 ti=16 vIdx=4 rIdx=0 oIdx=0 buffer=1 iui=0
/* localReadsVacancy: latencyLeft 1 */
v_add_f64 v[246:247], -v[vgprValuA_X0_I0+4+0+0+2:vgprValuA_X0_I0+4+0+0+2+1], 0 // Ai=-Ai
v_mfma_f64_16x16x4_f64 v[8+0:15+0], v[vgprG2LB+16+0:vgprG2LB+16+0+1], v[vgprValuA_X0_I0+4+0+0:vgprValuA_X0_I0+4+0+0+1], v[8:15]
 // Cr += Ar*Br
/*  mfmaIndex:85  */
/* localReadsVacancy: latencyLeft 5 */
v_mfma_f64_16x16x4_f64 v[48+0:55+0], v[vgprG2LB+16+0:vgprG2LB+16+0+1], v[vgprValuA_X0_I0+4+0+0+2:vgprValuA_X0_I0+4+0+0+2+1], v[48:55]
 // Ci += Ai*Br
/*  mfmaIndex:86  */
/* localReadsVacancy: latencyLeft 5 */
v_mfma_f64_16x16x4_f64 v[8+0:15+0], v[vgprG2LB+16+0+2:vgprG2LB+16+0+2+1], v[246:247], v[8:15]
 // Cr += -Ai*Bi
/*  mfmaIndex:87  */
/* localReadsVacancy: latencyLeft 5 */
v_mfma_f64_16x16x4_f64 v[48+0:55+0], v[vgprG2LB+16+0+2:vgprG2LB+16+0+2+1], v[vgprValuA_X0_I0+4+0+0:vgprValuA_X0_I0+4+0+0+1], v[48:55]
 // Ci += Ar*Bi
/*  mfmaIndex:88  */
/* localReadsVacancy: latencyLeft 5 */
v_add_f64 v[246:247], -v[vgprValuA_X0_I0+8+0+0+2:vgprValuA_X0_I0+8+0+0+2+1], 0 // Ai=-Ai
v_mfma_f64_16x16x4_f64 v[16+0:23+0], v[vgprG2LB+16+0:vgprG2LB+16+0+1], v[vgprValuA_X0_I0+8+0+0:vgprValuA_X0_I0+8+0+0+1], v[16:23]
 // Cr += Ar*Br
/*  mfmaIndex:89  */
/* localReadsVacancy: latencyLeft 5 */
v_mfma_f64_16x16x4_f64 v[56+0:63+0], v[vgprG2LB+16+0:vgprG2LB+16+0+1], v[vgprValuA_X0_I0+8+0+0+2:vgprValuA_X0_I0+8+0+0+2+1], v[56:63]
 // Ci += Ai*Br
/*  mfmaIndex:90  */
/* localReadsVacancy: latencyLeft 5 */
v_mfma_f64_16x16x4_f64 v[16+0:23+0], v[vgprG2LB+16+0+2:vgprG2LB+16+0+2+1], v[246:247], v[16:23]
 // Cr += -Ai*Bi
/*  mfmaIndex:91  */
/* localReadsVacancy: latencyLeft 5 */
v_mfma_f64_16x16x4_f64 v[56+0:63+0], v[vgprG2LB+16+0+2:vgprG2LB+16+0+2+1], v[vgprValuA_X0_I0+8+0+0:vgprValuA_X0_I0+8+0+0+1], v[56:63]
 // Ci += Ar*Bi
/*  mfmaIndex:92  */
	;; [unrolled: 17-line block ×3, first 2 shown]
/* localReadsVacancy: latencyLeft 5 */
v_add_f64 v[246:247], -v[vgprValuA_X0_I0+16+0+0+2:vgprValuA_X0_I0+16+0+0+2+1], 0 // Ai=-Ai
v_mfma_f64_16x16x4_f64 v[32+0:39+0], v[vgprG2LB+16+0:vgprG2LB+16+0+1], v[vgprValuA_X0_I0+16+0+0:vgprValuA_X0_I0+16+0+0+1], v[32:39]
 // Cr += Ar*Br
/*  mfmaIndex:97  */
/* localReadsVacancy: latencyLeft 5 */
v_mfma_f64_16x16x4_f64 v[72+0:79+0], v[vgprG2LB+16+0:vgprG2LB+16+0+1], v[vgprValuA_X0_I0+16+0+0+2:vgprValuA_X0_I0+16+0+0+2+1], v[72:79]
 // Ci += Ai*Br
/*  mfmaIndex:98  */
/* localReadsVacancy: latencyLeft 5 */
v_mfma_f64_16x16x4_f64 v[32+0:39+0], v[vgprG2LB+16+0+2:vgprG2LB+16+0+2+1], v[246:247], v[32:39]
 // Cr += -Ai*Bi
/*  mfmaIndex:99  */
/* localReadsVacancy: latencyLeft 5 */
v_mfma_f64_16x16x4_f64 v[72+0:79+0], v[vgprG2LB+16+0+2:vgprG2LB+16+0+2+1], v[vgprValuA_X0_I0+16+0+0:vgprValuA_X0_I0+16+0+0+1], v[72:79]
 // Ci += Ar*Bi
/* numPrefetchIter=0 */
/* dataAtIterA=3 numReadsIterA=5 skipReadsIterA=1 readsPerIterA=5 */
/* dataAtIterB=3 numReadsIterB=5 skipReadsIterB=1 readsPerIterB=1 */


/* iter 5 */

s_waitcnt vmcnt(20)                                // lgkmcnt=-1 vmcnt=20global read wait for DirectToVgpr

/*  grEndMfmaIndex:4, lwStartMfmaIndex:131, lwEndMfmaIndex:139  */
/*  numMfmaForLR:10, barrierMfmaIndex:149, LocalWritePerMfma:1.060 */
/*  mfmaIndex:100  */
_ds_load_b128 v[vgprValuA_X0_I0+0:vgprValuA_X0_I0+0+3], v[vgprLocalReadAddrA] offset:30720 // L -> Reg lro=1920 swapByteOffset=0 ti=16 vIdx=0 rIdx=0 oIdx=0 buffer=0 iui=0
s_waitcnt lgkmcnt(1)                               // lgkmcnt=0 vmcnt=-1wait for prior local read local write old=0, new=1 newLW=0 newLR=1
v_add_f64 v[246:247], -v[vgprValuA_X1_I0+0+0+0+2:vgprValuA_X1_I0+0+0+0+2+1], 0 // Ai=-Ai
v_mfma_f64_16x16x4_f64 v[0+0:7+0], v[vgprG2LB+20+0:vgprG2LB+20+0+1], v[vgprValuA_X1_I0+0+0+0:vgprValuA_X1_I0+0+0+0+1], v[0:7]
 // Cr += Ar*Br
/*  mfmaIndex:101  */
_ds_load_b128 v[vgprValuA_X0_I0+4:vgprValuA_X0_I0+4+3], v[vgprLocalReadAddrA] offset:30976 // L -> Reg lro=1920 swapByteOffset=0 ti=16 vIdx=1 rIdx=0 oIdx=0 buffer=0 iui=0
v_mfma_f64_16x16x4_f64 v[40+0:47+0], v[vgprG2LB+20+0:vgprG2LB+20+0+1], v[vgprValuA_X1_I0+0+0+0+2:vgprValuA_X1_I0+0+0+0+2+1], v[40:47]
 // Ci += Ai*Br
/*  mfmaIndex:102  */
_ds_load_b128 v[vgprValuA_X0_I0+8:vgprValuA_X0_I0+8+3], v[vgprLocalReadAddrA] offset:31232 // L -> Reg lro=1920 swapByteOffset=0 ti=16 vIdx=2 rIdx=0 oIdx=0 buffer=0 iui=0
v_mfma_f64_16x16x4_f64 v[0+0:7+0], v[vgprG2LB+20+0+2:vgprG2LB+20+0+2+1], v[246:247], v[0:7]
 // Cr += -Ai*Bi
/*  mfmaIndex:103  */
_ds_load_b128 v[vgprValuA_X0_I0+12:vgprValuA_X0_I0+12+3], v[vgprLocalReadAddrA] offset:31488 // L -> Reg lro=1920 swapByteOffset=0 ti=16 vIdx=3 rIdx=0 oIdx=0 buffer=0 iui=0
v_mfma_f64_16x16x4_f64 v[40+0:47+0], v[vgprG2LB+20+0+2:vgprG2LB+20+0+2+1], v[vgprValuA_X1_I0+0+0+0:vgprValuA_X1_I0+0+0+0+1], v[40:47]
 // Ci += Ar*Bi
/*  mfmaIndex:104  */
_ds_load_b128 v[vgprValuA_X0_I0+16:vgprValuA_X0_I0+16+3], v[vgprLocalReadAddrA] offset:31744 // L -> Reg lro=1920 swapByteOffset=0 ti=16 vIdx=4 rIdx=0 oIdx=0 buffer=0 iui=0
/* localReadsVacancy: latencyLeft 1 */
v_add_f64 v[246:247], -v[vgprValuA_X1_I0+4+0+0+2:vgprValuA_X1_I0+4+0+0+2+1], 0 // Ai=-Ai
v_mfma_f64_16x16x4_f64 v[8+0:15+0], v[vgprG2LB+20+0:vgprG2LB+20+0+1], v[vgprValuA_X1_I0+4+0+0:vgprValuA_X1_I0+4+0+0+1], v[8:15]
 // Cr += Ar*Br
/*  mfmaIndex:105  */
/* localReadsVacancy: latencyLeft 5 */
v_mfma_f64_16x16x4_f64 v[48+0:55+0], v[vgprG2LB+20+0:vgprG2LB+20+0+1], v[vgprValuA_X1_I0+4+0+0+2:vgprValuA_X1_I0+4+0+0+2+1], v[48:55]
 // Ci += Ai*Br
/*  mfmaIndex:106  */
/* localReadsVacancy: latencyLeft 5 */
v_mfma_f64_16x16x4_f64 v[8+0:15+0], v[vgprG2LB+20+0+2:vgprG2LB+20+0+2+1], v[246:247], v[8:15]
 // Cr += -Ai*Bi
/*  mfmaIndex:107  */
/* localReadsVacancy: latencyLeft 5 */
v_mfma_f64_16x16x4_f64 v[48+0:55+0], v[vgprG2LB+20+0+2:vgprG2LB+20+0+2+1], v[vgprValuA_X1_I0+4+0+0:vgprValuA_X1_I0+4+0+0+1], v[48:55]
 // Ci += Ar*Bi
/*  mfmaIndex:108  */
/* localReadsVacancy: latencyLeft 5 */
v_add_f64 v[246:247], -v[vgprValuA_X1_I0+8+0+0+2:vgprValuA_X1_I0+8+0+0+2+1], 0 // Ai=-Ai
v_mfma_f64_16x16x4_f64 v[16+0:23+0], v[vgprG2LB+20+0:vgprG2LB+20+0+1], v[vgprValuA_X1_I0+8+0+0:vgprValuA_X1_I0+8+0+0+1], v[16:23]
 // Cr += Ar*Br
/*  mfmaIndex:109  */
/* localReadsVacancy: latencyLeft 5 */
v_mfma_f64_16x16x4_f64 v[56+0:63+0], v[vgprG2LB+20+0:vgprG2LB+20+0+1], v[vgprValuA_X1_I0+8+0+0+2:vgprValuA_X1_I0+8+0+0+2+1], v[56:63]
 // Ci += Ai*Br
/*  mfmaIndex:110  */
/* localReadsVacancy: latencyLeft 5 */
v_mfma_f64_16x16x4_f64 v[16+0:23+0], v[vgprG2LB+20+0+2:vgprG2LB+20+0+2+1], v[246:247], v[16:23]
 // Cr += -Ai*Bi
/*  mfmaIndex:111  */
/* localReadsVacancy: latencyLeft 5 */
v_mfma_f64_16x16x4_f64 v[56+0:63+0], v[vgprG2LB+20+0+2:vgprG2LB+20+0+2+1], v[vgprValuA_X1_I0+8+0+0:vgprValuA_X1_I0+8+0+0+1], v[56:63]
 // Ci += Ar*Bi
/*  mfmaIndex:112  */
	;; [unrolled: 17-line block ×3, first 2 shown]
/* localReadsVacancy: latencyLeft 5 */
v_add_f64 v[246:247], -v[vgprValuA_X1_I0+16+0+0+2:vgprValuA_X1_I0+16+0+0+2+1], 0 // Ai=-Ai
v_mfma_f64_16x16x4_f64 v[32+0:39+0], v[vgprG2LB+20+0:vgprG2LB+20+0+1], v[vgprValuA_X1_I0+16+0+0:vgprValuA_X1_I0+16+0+0+1], v[32:39]
 // Cr += Ar*Br
/*  mfmaIndex:117  */
/* localReadsVacancy: latencyLeft 5 */
v_mfma_f64_16x16x4_f64 v[72+0:79+0], v[vgprG2LB+20+0:vgprG2LB+20+0+1], v[vgprValuA_X1_I0+16+0+0+2:vgprValuA_X1_I0+16+0+0+2+1], v[72:79]
 // Ci += Ai*Br
/*  mfmaIndex:118  */
/* localReadsVacancy: latencyLeft 5 */
v_mfma_f64_16x16x4_f64 v[32+0:39+0], v[vgprG2LB+20+0+2:vgprG2LB+20+0+2+1], v[246:247], v[32:39]
 // Cr += -Ai*Bi
/*  mfmaIndex:119  */
/* localReadsVacancy: latencyLeft 5 */
v_mfma_f64_16x16x4_f64 v[72+0:79+0], v[vgprG2LB+20+0+2:vgprG2LB+20+0+2+1], v[vgprValuA_X1_I0+16+0+0:vgprValuA_X1_I0+16+0+0+1], v[72:79]
 // Ci += Ar*Bi
/* numPrefetchIter=0 */
/* dataAtIterA=4 numReadsIterA=6 skipReadsIterA=1 readsPerIterA=5 */
/* dataAtIterB=4 numReadsIterB=6 skipReadsIterB=1 readsPerIterB=1 */


/* iter 6 (reset local read pointers iteration)  (swap and reset local write pointers iteration)  (swap local read pointers iteration)  */

s_waitcnt vmcnt(19)                                // lgkmcnt=-1 vmcnt=19global read wait for DirectToVgpr

/*  grEndMfmaIndex:4, lwStartMfmaIndex:131, lwEndMfmaIndex:139  */
/*  numMfmaForLR:10, barrierMfmaIndex:149, LocalWritePerMfma:1.060 */
/*  mfmaIndex:120  */
_ds_load_b128 v[vgprValuA_X1_I0+0:vgprValuA_X1_I0+0+3], v[vgprLocalReadAddrA] offset:35840 // L -> Reg lro=2240 swapByteOffset=0 ti=16 vIdx=0 rIdx=0 oIdx=0 buffer=1 iui=0
s_waitcnt lgkmcnt(1)                               // lgkmcnt=0 vmcnt=-1wait for prior local read local write old=0, new=1 newLW=0 newLR=1
v_add_f64 v[246:247], -v[vgprValuA_X0_I0+0+0+0+2:vgprValuA_X0_I0+0+0+0+2+1], 0 // Ai=-Ai
v_mfma_f64_16x16x4_f64 v[0+0:7+0], v[vgprG2LB+24+0:vgprG2LB+24+0+1], v[vgprValuA_X0_I0+0+0+0:vgprValuA_X0_I0+0+0+0+1], v[0:7]
 // Cr += Ar*Br
/*  mfmaIndex:121  */
_ds_load_b128 v[vgprValuA_X1_I0+4:vgprValuA_X1_I0+4+3], v[vgprLocalReadAddrA] offset:36096 // L -> Reg lro=2240 swapByteOffset=0 ti=16 vIdx=1 rIdx=0 oIdx=0 buffer=1 iui=0
v_mfma_f64_16x16x4_f64 v[40+0:47+0], v[vgprG2LB+24+0:vgprG2LB+24+0+1], v[vgprValuA_X0_I0+0+0+0+2:vgprValuA_X0_I0+0+0+0+2+1], v[40:47]
 // Ci += Ai*Br
/*  mfmaIndex:122  */
_ds_load_b128 v[vgprValuA_X1_I0+8:vgprValuA_X1_I0+8+3], v[vgprLocalReadAddrA] offset:36352 // L -> Reg lro=2240 swapByteOffset=0 ti=16 vIdx=2 rIdx=0 oIdx=0 buffer=1 iui=0
v_mfma_f64_16x16x4_f64 v[0+0:7+0], v[vgprG2LB+24+0+2:vgprG2LB+24+0+2+1], v[246:247], v[0:7]
 // Cr += -Ai*Bi
/*  mfmaIndex:123  */
_ds_load_b128 v[vgprValuA_X1_I0+12:vgprValuA_X1_I0+12+3], v[vgprLocalReadAddrA] offset:36608 // L -> Reg lro=2240 swapByteOffset=0 ti=16 vIdx=3 rIdx=0 oIdx=0 buffer=1 iui=0
v_mfma_f64_16x16x4_f64 v[40+0:47+0], v[vgprG2LB+24+0+2:vgprG2LB+24+0+2+1], v[vgprValuA_X0_I0+0+0+0:vgprValuA_X0_I0+0+0+0+1], v[40:47]
 // Ci += Ar*Bi
/*  mfmaIndex:124  */
_ds_load_b128 v[vgprValuA_X1_I0+16:vgprValuA_X1_I0+16+3], v[vgprLocalReadAddrA] offset:36864 // L -> Reg lro=2240 swapByteOffset=0 ti=16 vIdx=4 rIdx=0 oIdx=0 buffer=1 iui=0
/* localReadsVacancy: latencyLeft 1 */
v_add_f64 v[246:247], -v[vgprValuA_X0_I0+4+0+0+2:vgprValuA_X0_I0+4+0+0+2+1], 0 // Ai=-Ai
v_mfma_f64_16x16x4_f64 v[8+0:15+0], v[vgprG2LB+24+0:vgprG2LB+24+0+1], v[vgprValuA_X0_I0+4+0+0:vgprValuA_X0_I0+4+0+0+1], v[8:15]
 // Cr += Ar*Br
/*  mfmaIndex:125  */
/* localReadsVacancy: latencyLeft 5 */
v_mfma_f64_16x16x4_f64 v[48+0:55+0], v[vgprG2LB+24+0:vgprG2LB+24+0+1], v[vgprValuA_X0_I0+4+0+0+2:vgprValuA_X0_I0+4+0+0+2+1], v[48:55]
 // Ci += Ai*Br
/*  mfmaIndex:126  */
/* localReadsVacancy: latencyLeft 5 */
v_mfma_f64_16x16x4_f64 v[8+0:15+0], v[vgprG2LB+24+0+2:vgprG2LB+24+0+2+1], v[246:247], v[8:15]
 // Cr += -Ai*Bi
/*  mfmaIndex:127  */
/* localReadsVacancy: latencyLeft 5 */
v_mfma_f64_16x16x4_f64 v[48+0:55+0], v[vgprG2LB+24+0+2:vgprG2LB+24+0+2+1], v[vgprValuA_X0_I0+4+0+0:vgprValuA_X0_I0+4+0+0+1], v[48:55]
 // Ci += Ar*Bi
/*  mfmaIndex:128  */
/* localReadsVacancy: latencyLeft 5 */
v_add_f64 v[246:247], -v[vgprValuA_X0_I0+8+0+0+2:vgprValuA_X0_I0+8+0+0+2+1], 0 // Ai=-Ai
v_mfma_f64_16x16x4_f64 v[16+0:23+0], v[vgprG2LB+24+0:vgprG2LB+24+0+1], v[vgprValuA_X0_I0+8+0+0:vgprValuA_X0_I0+8+0+0+1], v[16:23]
 // Cr += Ar*Br
/*  mfmaIndex:129  */
/* localReadsVacancy: latencyLeft 5 */
v_mfma_f64_16x16x4_f64 v[56+0:63+0], v[vgprG2LB+24+0:vgprG2LB+24+0+1], v[vgprValuA_X0_I0+8+0+0+2:vgprValuA_X0_I0+8+0+0+2+1], v[56:63]
 // Ci += Ai*Br
/*  mfmaIndex:130  */
/* localReadsVacancy: latencyLeft 5 */
/* 1 LDS buffer: read-sync-write */
s_waitcnt lgkmcnt(0)                               // 
s_barrier                                          // 
v_mfma_f64_16x16x4_f64 v[16+0:23+0], v[vgprG2LB+24+0+2:vgprG2LB+24+0+2+1], v[246:247], v[16:23]
 // Cr += -Ai*Bi
/*  mfmaIndex:131  */
/* sched write - iter 6 writesPerItem=1 */
s_waitcnt vmcnt(0)                                 // lgkmcnt=-1 vmcnt=0wait for global read before writing to local
_ds_store_b128 v[vgprLocalWriteAddrA], v[vgprG2LA+0:vgprG2LA+0+3] offset:0 // lwoA_0_0_0_0 = (0*LSCA) + (0*LSPA)(*MT0I+PAD) = 0
_buffer_load_b128 v[vgprG2LA+0:vgprG2LA+0+3], v[vgprGlobalReadOffsetA+0], s[sgprSrdA:sgprSrdA+3], 0, offen offset:0 // G -> Reg 0_0_0_0
/* sched write - iter 6 writesPerItem=1 */
s_waitcnt vmcnt(0)                                 // lgkmcnt=-1 vmcnt=0wait for global read before writing to local
_ds_store_b128 v[vgprLocalWriteAddrA], v[vgprG2LA+4:vgprG2LA+4+3] offset:256 // lwoA_1_0_0_0 = (1*LSCA) + (0*LSPA)(*MT0I+PAD) = 256
v_mfma_f64_16x16x4_f64 v[56+0:63+0], v[vgprG2LB+24+0+2:vgprG2LB+24+0+2+1], v[vgprValuA_X0_I0+8+0+0:vgprValuA_X0_I0+8+0+0+1], v[56:63]
 // Ci += Ar*Bi
/*  mfmaIndex:132  */
_buffer_load_b128 v[vgprG2LA+4:vgprG2LA+4+3], v[vgprGlobalReadOffsetA+1], s[sgprSrdA:sgprSrdA+3], 0, offen offset:0 // G -> Reg 1_0_0_0
/* sched write - iter 6 writesPerItem=1 */
s_waitcnt vmcnt(0)                                 // lgkmcnt=-1 vmcnt=0wait for global read before writing to local
_ds_store_b128 v[vgprLocalWriteAddrA], v[vgprG2LA+8:vgprG2LA+8+3] offset:512 // lwoA_2_0_0_0 = (2*LSCA) + (0*LSPA)(*MT0I+PAD) = 512
_buffer_load_b128 v[vgprG2LA+8:vgprG2LA+8+3], v[vgprGlobalReadOffsetA+2], s[sgprSrdA:sgprSrdA+3], 0, offen offset:0 // G -> Reg 2_0_0_0
v_add_f64 v[246:247], -v[vgprValuA_X0_I0+12+0+0+2:vgprValuA_X0_I0+12+0+0+2+1], 0 // Ai=-Ai
v_mfma_f64_16x16x4_f64 v[24+0:31+0], v[vgprG2LB+24+0:vgprG2LB+24+0+1], v[vgprValuA_X0_I0+12+0+0:vgprValuA_X0_I0+12+0+0+1], v[24:31]
 // Cr += Ar*Br
/*  mfmaIndex:133  */
/* sched write - iter 6 writesPerItem=1 */
s_waitcnt vmcnt(0)                                 // lgkmcnt=-1 vmcnt=0wait for global read before writing to local
_ds_store_b128 v[vgprLocalWriteAddrA], v[vgprG2LA+12:vgprG2LA+12+3] offset:768 // lwoA_3_0_0_0 = (3*LSCA) + (0*LSPA)(*MT0I+PAD) = 768
_buffer_load_b128 v[vgprG2LA+12:vgprG2LA+12+3], v[vgprGlobalReadOffsetA+3], s[sgprSrdA:sgprSrdA+3], 0, offen offset:0 // G -> Reg 3_0_0_0
v_mfma_f64_16x16x4_f64 v[64+0:71+0], v[vgprG2LB+24+0:vgprG2LB+24+0+1], v[vgprValuA_X0_I0+12+0+0+2:vgprValuA_X0_I0+12+0+0+2+1], v[64:71]
 // Ci += Ai*Br
/*  mfmaIndex:134  */
/* sched write - iter 6 writesPerItem=1 */
s_waitcnt vmcnt(0)                                 // lgkmcnt=-1 vmcnt=0wait for global read before writing to local
_ds_store_b128 v[vgprLocalWriteAddrA], v[vgprG2LA+16:vgprG2LA+16+3] offset:1024 // lwoA_4_0_0_0 = (4*LSCA) + (0*LSPA)(*MT0I+PAD) = 1024
_buffer_load_b128 v[vgprG2LA+16:vgprG2LA+16+3], v[vgprGlobalReadOffsetA+4], s[sgprSrdA:sgprSrdA+3], 0, offen offset:0 // G -> Reg 4_0_0_0
v_mfma_f64_16x16x4_f64 v[24+0:31+0], v[vgprG2LB+24+0+2:vgprG2LB+24+0+2+1], v[246:247], v[24:31]
 // Cr += -Ai*Bi
/*  mfmaIndex:135  */
/* sched write - iter 6 writesPerItem=1 */
s_waitcnt vmcnt(0)                                 // lgkmcnt=-1 vmcnt=0wait for global read before writing to local
_ds_store_b128 v[vgprLocalWriteAddrA], v[vgprG2LA+20:vgprG2LA+20+3] offset:20480 // lwoA_0_0_1_0 = (0*LSCA) + (1*LSPA)(*MT0I+PAD) = 20480
_buffer_load_b128 v[vgprG2LA+20:vgprG2LA+20+3], v[vgprGlobalReadOffsetA+5], s[sgprSrdA:sgprSrdA+3], 0, offen offset:0 // G -> Reg 0_0_1_0
v_mfma_f64_16x16x4_f64 v[64+0:71+0], v[vgprG2LB+24+0+2:vgprG2LB+24+0+2+1], v[vgprValuA_X0_I0+12+0+0:vgprValuA_X0_I0+12+0+0+1], v[64:71]
 // Ci += Ar*Bi
/*  mfmaIndex:136  */
/* sched write - iter 6 writesPerItem=1 */
s_waitcnt vmcnt(0)                                 // lgkmcnt=-1 vmcnt=0wait for global read before writing to local
_ds_store_b128 v[vgprLocalWriteAddrA], v[vgprG2LA+24:vgprG2LA+24+3] offset:20736 // lwoA_1_0_1_0 = (1*LSCA) + (1*LSPA)(*MT0I+PAD) = 20736
_buffer_load_b128 v[vgprG2LA+24:vgprG2LA+24+3], v[vgprGlobalReadOffsetA+6], s[sgprSrdA:sgprSrdA+3], 0, offen offset:0 // G -> Reg 1_0_1_0
v_add_f64 v[246:247], -v[vgprValuA_X0_I0+16+0+0+2:vgprValuA_X0_I0+16+0+0+2+1], 0 // Ai=-Ai
v_mfma_f64_16x16x4_f64 v[32+0:39+0], v[vgprG2LB+24+0:vgprG2LB+24+0+1], v[vgprValuA_X0_I0+16+0+0:vgprValuA_X0_I0+16+0+0+1], v[32:39]
 // Cr += Ar*Br
/*  mfmaIndex:137  */
/* sched write - iter 6 writesPerItem=1 */
s_waitcnt vmcnt(0)                                 // lgkmcnt=-1 vmcnt=0wait for global read before writing to local
_ds_store_b128 v[vgprLocalWriteAddrA], v[vgprG2LA+28:vgprG2LA+28+3] offset:20992 // lwoA_2_0_1_0 = (2*LSCA) + (1*LSPA)(*MT0I+PAD) = 20992
_buffer_load_b128 v[vgprG2LA+28:vgprG2LA+28+3], v[vgprGlobalReadOffsetA+7], s[sgprSrdA:sgprSrdA+3], 0, offen offset:0 // G -> Reg 2_0_1_0
v_mfma_f64_16x16x4_f64 v[72+0:79+0], v[vgprG2LB+24+0:vgprG2LB+24+0+1], v[vgprValuA_X0_I0+16+0+0+2:vgprValuA_X0_I0+16+0+0+2+1], v[72:79]
 // Ci += Ai*Br
/*  mfmaIndex:138  */
/* sched write - iter 6 writesPerItem=1 */
s_waitcnt vmcnt(0)                                 // lgkmcnt=-1 vmcnt=0wait for global read before writing to local
_ds_store_b128 v[vgprLocalWriteAddrA], v[vgprG2LA+32:vgprG2LA+32+3] offset:21248 // lwoA_3_0_1_0 = (3*LSCA) + (1*LSPA)(*MT0I+PAD) = 21248
_buffer_load_b128 v[vgprG2LA+32:vgprG2LA+32+3], v[vgprGlobalReadOffsetA+8], s[sgprSrdA:sgprSrdA+3], 0, offen offset:0 // G -> Reg 3_0_1_0
v_mfma_f64_16x16x4_f64 v[32+0:39+0], v[vgprG2LB+24+0+2:vgprG2LB+24+0+2+1], v[246:247], v[32:39]
 // Cr += -Ai*Bi
/*  mfmaIndex:139  */
/* sched write - iter 6 writesPerItem=1 */
s_waitcnt vmcnt(0)                                 // lgkmcnt=-1 vmcnt=0wait for global read before writing to local
_ds_store_b128 v[vgprLocalWriteAddrA], v[vgprG2LA+36:vgprG2LA+36+3] offset:21504 // lwoA_4_0_1_0 = (4*LSCA) + (1*LSPA)(*MT0I+PAD) = 21504
_buffer_load_b128 v[vgprG2LA+36:vgprG2LA+36+3], v[vgprGlobalReadOffsetA+9], s[sgprSrdA:sgprSrdA+3], 0, offen offset:0 // G -> Reg 4_0_1_0

/* local write swap offsets a */

/* local write swap offsets b */

/* local read swap offsets a */

/* local read swap offsets b */

/* local read init pointers a */

/* localReadInitPointers */

/* local read init pointers b */
v_mfma_f64_16x16x4_f64 v[72+0:79+0], v[vgprG2LB+24+0+2:vgprG2LB+24+0+2+1], v[vgprValuA_X0_I0+16+0+0:vgprValuA_X0_I0+16+0+0+1], v[72:79]
 // Ci += Ar*Bi
/* numPrefetchIter=0 */
/* dataAtIterA=5 numReadsIterA=7 skipReadsIterA=1 readsPerIterA=5 */
/* dataAtIterB=5 numReadsIterB=7 skipReadsIterB=1 readsPerIterB=1 */


/* iter 7 */

/*  grEndMfmaIndex:4, lwStartMfmaIndex:131, lwEndMfmaIndex:139  */
/*  numMfmaForLR:10, barrierMfmaIndex:149, LocalWritePerMfma:1.060 */
/*  mfmaIndex:140  */
s_waitcnt lgkmcnt(10)                              // lgkmcnt=0 vmcnt=-1wait for prior local read local write old=0, new=10 newLW=10 newLR=0
v_add_f64 v[246:247], -v[vgprValuA_X1_I0+0+0+0+2:vgprValuA_X1_I0+0+0+0+2+1], 0 // Ai=-Ai
v_mfma_f64_16x16x4_f64 v[0+0:7+0], v[vgprG2LB+28+0:vgprG2LB+28+0+1], v[vgprValuA_X1_I0+0+0+0:vgprValuA_X1_I0+0+0+0+1], v[0:7]
 // Cr += Ar*Br
_buffer_load_b128 v[vgprG2LB0+0:vgprG2LB0+0+3], v[vgprGlobalReadOffsetB+0], s[sgprSrdB:sgprSrdB+3], 0, offen offset:0 // G -> Reg 0_0_0_0
/*  mfmaIndex:141  */
v_mfma_f64_16x16x4_f64 v[40+0:47+0], v[vgprG2LB+28+0:vgprG2LB+28+0+1], v[vgprValuA_X1_I0+0+0+0+2:vgprValuA_X1_I0+0+0+0+2+1], v[40:47]
 // Ci += Ai*Br
_buffer_load_b128 v[vgprG2LB0+4:vgprG2LB0+4+3], v[vgprGlobalReadOffsetB+1], s[sgprSrdB:sgprSrdB+3], 0, offen offset:0 // G -> Reg 0_0_1_0
/*  mfmaIndex:142  */
v_mfma_f64_16x16x4_f64 v[0+0:7+0], v[vgprG2LB+28+0+2:vgprG2LB+28+0+2+1], v[246:247], v[0:7]
 // Cr += -Ai*Bi
/*  mfmaIndex:143  */
v_mfma_f64_16x16x4_f64 v[40+0:47+0], v[vgprG2LB+28+0+2:vgprG2LB+28+0+2+1], v[vgprValuA_X1_I0+0+0+0:vgprValuA_X1_I0+0+0+0+1], v[40:47]
 // Ci += Ar*Bi
/*  mfmaIndex:144  */
v_add_f64 v[246:247], -v[vgprValuA_X1_I0+4+0+0+2:vgprValuA_X1_I0+4+0+0+2+1], 0 // Ai=-Ai
v_mfma_f64_16x16x4_f64 v[8+0:15+0], v[vgprG2LB+28+0:vgprG2LB+28+0+1], v[vgprValuA_X1_I0+4+0+0:vgprValuA_X1_I0+4+0+0+1], v[8:15]
 // Cr += Ar*Br
_buffer_load_b128 v[vgprG2LB0+8:vgprG2LB0+8+3], v[vgprGlobalReadOffsetB+2], s[sgprSrdB:sgprSrdB+3], 0, offen offset:0 // G -> Reg 0_0_2_0
/*  mfmaIndex:145  */
v_mfma_f64_16x16x4_f64 v[48+0:55+0], v[vgprG2LB+28+0:vgprG2LB+28+0+1], v[vgprValuA_X1_I0+4+0+0+2:vgprValuA_X1_I0+4+0+0+2+1], v[48:55]
 // Ci += Ai*Br
/*  mfmaIndex:146  */
v_mfma_f64_16x16x4_f64 v[8+0:15+0], v[vgprG2LB+28+0+2:vgprG2LB+28+0+2+1], v[246:247], v[8:15]
 // Cr += -Ai*Bi
/*  mfmaIndex:147  */
v_mfma_f64_16x16x4_f64 v[48+0:55+0], v[vgprG2LB+28+0+2:vgprG2LB+28+0+2+1], v[vgprValuA_X1_I0+4+0+0:vgprValuA_X1_I0+4+0+0+1], v[48:55]
 // Ci += Ar*Bi
_buffer_load_b128 v[vgprG2LB0+12:vgprG2LB0+12+3], v[vgprGlobalReadOffsetB+3], s[sgprSrdB:sgprSrdB+3], 0, offen offset:0 // G -> Reg 0_0_3_0
/*  mfmaIndex:148  */
v_add_f64 v[246:247], -v[vgprValuA_X1_I0+8+0+0+2:vgprValuA_X1_I0+8+0+0+2+1], 0 // Ai=-Ai
v_mfma_f64_16x16x4_f64 v[16+0:23+0], v[vgprG2LB+28+0:vgprG2LB+28+0+1], v[vgprValuA_X1_I0+8+0+0:vgprValuA_X1_I0+8+0+0+1], v[16:23]
 // Cr += Ar*Br
/*  mfmaIndex:149  */
s_waitcnt lgkmcnt(0)                               // lgkmcnt=0 vmcnt=-13wait for local write
s_barrier
v_mfma_f64_16x16x4_f64 v[56+0:63+0], v[vgprG2LB+28+0:vgprG2LB+28+0+1], v[vgprValuA_X1_I0+8+0+0+2:vgprValuA_X1_I0+8+0+0+2+1], v[56:63]
 // Ci += Ai*Br
/*  mfmaIndex:150  */
_ds_load_b128 v[vgprValuA_X0_I0+0:vgprValuA_X0_I0+0+3], v[vgprLocalReadAddrA] offset:0 // L -> Reg lro=0 swapByteOffset=0 ti=16 vIdx=0 rIdx=0 oIdx=0 buffer=0 iui=0
v_mfma_f64_16x16x4_f64 v[16+0:23+0], v[vgprG2LB+28+0+2:vgprG2LB+28+0+2+1], v[246:247], v[16:23]
 // Cr += -Ai*Bi
_buffer_load_b128 v[vgprG2LB0+16:vgprG2LB0+16+3], v[vgprGlobalReadOffsetB+4], s[sgprSrdB:sgprSrdB+3], 0, offen offset:0 // G -> Reg 0_0_4_0
/*  mfmaIndex:151  */
_ds_load_b128 v[vgprValuA_X0_I0+4:vgprValuA_X0_I0+4+3], v[vgprLocalReadAddrA] offset:256 // L -> Reg lro=0 swapByteOffset=0 ti=16 vIdx=1 rIdx=0 oIdx=0 buffer=0 iui=0
v_mfma_f64_16x16x4_f64 v[56+0:63+0], v[vgprG2LB+28+0+2:vgprG2LB+28+0+2+1], v[vgprValuA_X1_I0+8+0+0:vgprValuA_X1_I0+8+0+0+1], v[56:63]
 // Ci += Ar*Bi
/*  mfmaIndex:152  */
_ds_load_b128 v[vgprValuA_X0_I0+8:vgprValuA_X0_I0+8+3], v[vgprLocalReadAddrA] offset:512 // L -> Reg lro=0 swapByteOffset=0 ti=16 vIdx=2 rIdx=0 oIdx=0 buffer=0 iui=0
v_add_f64 v[246:247], -v[vgprValuA_X1_I0+12+0+0+2:vgprValuA_X1_I0+12+0+0+2+1], 0 // Ai=-Ai
v_mfma_f64_16x16x4_f64 v[24+0:31+0], v[vgprG2LB+28+0:vgprG2LB+28+0+1], v[vgprValuA_X1_I0+12+0+0:vgprValuA_X1_I0+12+0+0+1], v[24:31]
 // Cr += Ar*Br
/*  mfmaIndex:153  */
_ds_load_b128 v[vgprValuA_X0_I0+12:vgprValuA_X0_I0+12+3], v[vgprLocalReadAddrA] offset:768 // L -> Reg lro=0 swapByteOffset=0 ti=16 vIdx=3 rIdx=0 oIdx=0 buffer=0 iui=0
v_mfma_f64_16x16x4_f64 v[64+0:71+0], v[vgprG2LB+28+0:vgprG2LB+28+0+1], v[vgprValuA_X1_I0+12+0+0+2:vgprValuA_X1_I0+12+0+0+2+1], v[64:71]
 // Ci += Ai*Br
_buffer_load_b128 v[vgprG2LB0+20:vgprG2LB0+20+3], v[vgprGlobalReadOffsetB+5], s[sgprSrdB:sgprSrdB+3], 0, offen offset:0 // G -> Reg 0_0_5_0
/*  mfmaIndex:154  */
_ds_load_b128 v[vgprValuA_X0_I0+16:vgprValuA_X0_I0+16+3], v[vgprLocalReadAddrA] offset:1024 // L -> Reg lro=0 swapByteOffset=0 ti=16 vIdx=4 rIdx=0 oIdx=0 buffer=0 iui=0
v_mfma_f64_16x16x4_f64 v[24+0:31+0], v[vgprG2LB+28+0+2:vgprG2LB+28+0+2+1], v[246:247], v[24:31]
 // Cr += -Ai*Bi
/*  mfmaIndex:155  */
v_mfma_f64_16x16x4_f64 v[64+0:71+0], v[vgprG2LB+28+0+2:vgprG2LB+28+0+2+1], v[vgprValuA_X1_I0+12+0+0:vgprValuA_X1_I0+12+0+0+1], v[64:71]
 // Ci += Ar*Bi
/*  mfmaIndex:156  */
v_add_f64 v[246:247], -v[vgprValuA_X1_I0+16+0+0+2:vgprValuA_X1_I0+16+0+0+2+1], 0 // Ai=-Ai
v_mfma_f64_16x16x4_f64 v[32+0:39+0], v[vgprG2LB+28+0:vgprG2LB+28+0+1], v[vgprValuA_X1_I0+16+0+0:vgprValuA_X1_I0+16+0+0+1], v[32:39]
 // Cr += Ar*Br
_buffer_load_b128 v[vgprG2LB0+24:vgprG2LB0+24+3], v[vgprGlobalReadOffsetB+6], s[sgprSrdB:sgprSrdB+3], 0, offen offset:0 // G -> Reg 0_0_6_0
/*  mfmaIndex:157  */
v_mfma_f64_16x16x4_f64 v[72+0:79+0], v[vgprG2LB+28+0:vgprG2LB+28+0+1], v[vgprValuA_X1_I0+16+0+0+2:vgprValuA_X1_I0+16+0+0+2+1], v[72:79]
 // Ci += Ai*Br
/*  mfmaIndex:158  */
v_mfma_f64_16x16x4_f64 v[32+0:39+0], v[vgprG2LB+28+0+2:vgprG2LB+28+0+2+1], v[246:247], v[32:39]
 // Cr += -Ai*Bi
/*  mfmaIndex:159  */
v_mfma_f64_16x16x4_f64 v[72+0:79+0], v[vgprG2LB+28+0+2:vgprG2LB+28+0+2+1], v[vgprValuA_X1_I0+16+0+0:vgprValuA_X1_I0+16+0+0+1], v[72:79]
 // Ci += Ar*Bi
_buffer_load_b128 v[vgprG2LB0+28:vgprG2LB0+28+3], v[vgprGlobalReadOffsetB+7], s[sgprSrdB:sgprSrdB+3], 0, offen offset:0 // G -> Reg 0_0_7_0
/* numPrefetchIter=1 */
/* dataAtIterA=6 numReadsIterA=7 skipReadsIterA=1 readsPerIterA=5 */
/* dataAtIterB=6 numReadsIterB=7 skipReadsIterB=1 readsPerIterB=1 */


/******************************************/
/* Unrolled Loop - End 1/2                */
/******************************************/


/* closeLoop loopL finalLoop=0 tailLoop=0 */
s_sub_u32 s[sgprLoopCounterL], s[sgprLoopCounterL], 1 // dec counterL
s_cmp_eq_i32 s[sgprLoopCounterL], 0x2              // counterL==2
s_cbranch_scc1 LoopEndL_oddexit_3                  // exit LoopL


/******************************************/
/* Unrolled Loop 2/2 - Begin              */
/******************************************/

label_0016: // LoopCopy2 


/* Begin Each Unroll: Check VGPR.checkin for INT8 LW */


	;; [unrolled: 1-line block ×3, first 2 shown]
/* iter 0 */

s_waitcnt vmcnt(25)                                // lgkmcnt=-1 vmcnt=25global read wait for DirectToVgpr

/*  grEndMfmaIndex:4, lwStartMfmaIndex:131, lwEndMfmaIndex:139  */
/*  numMfmaForLR:10, barrierMfmaIndex:149, LocalWritePerMfma:1.060 */
/*  mfmaIndex:0  */
s_waitcnt lgkmcnt(0)                               // lgkmcnt=0 vmcnt=-1wait for prior local read local write old=0, new=0 newLW=0 newLR=0
v_add_f64 v[246:247], -v[vgprValuA_X0_I0+0+0+0+2:vgprValuA_X0_I0+0+0+0+2+1], 0 // Ai=-Ai
v_mfma_f64_16x16x4_f64 v[0+0:7+0], v[vgprG2LB+32+0:vgprG2LB+32+0+1], v[vgprValuA_X0_I0+0+0+0:vgprValuA_X0_I0+0+0+0+1], v[0:7]
 // Cr += Ar*Br
/*  mfmaIndex:1  */
_ds_load_b128 v[vgprValuA_X1_I0+0:vgprValuA_X1_I0+0+3], v[vgprLocalReadAddrA] offset:5120 // L -> Reg lro=320 swapByteOffset=0 ti=16 vIdx=0 rIdx=0 oIdx=0 buffer=1 iui=0

/* global read inc A loopL */
s_add_u32 s[sgprSrdA+0], s[sgprSrdA+0], s[sgprGlobalReadIncsA+0] // gra SRD += inc(lower)
s_addc_u32  s[sgprSrdA+1], s[sgprSrdA+1], 0        // gra SRD += inc(upper)
s_sub_u32 s[sgprShadowLimitA+0], s[sgprShadowLimitA+0], s[sgprGlobalReadIncsA+0] // limit -= inc)
v_mfma_f64_16x16x4_f64 v[40+0:47+0], v[vgprG2LB+32+0:vgprG2LB+32+0+1], v[vgprValuA_X0_I0+0+0+0+2:vgprValuA_X0_I0+0+0+0+2+1], v[40:47]
 // Ci += Ai*Br
/*  mfmaIndex:2  */
_ds_load_b128 v[vgprValuA_X1_I0+4:vgprValuA_X1_I0+4+3], v[vgprLocalReadAddrA] offset:5376 // L -> Reg lro=320 swapByteOffset=0 ti=16 vIdx=1 rIdx=0 oIdx=0 buffer=1 iui=0
s_subb_u32 s[sgprShadowLimitA+1], s[sgprShadowLimitA+1], 0 // limit -= inc)
s_cmp_eq_u32 s[sgprShadowLimitA+1], 0              // are we within 2^32?
s_cmov_b32 s[sgprSrdA+2], s[sgprShadowLimitA+0]    // Move shadow to real if we are within 2^32
v_mfma_f64_16x16x4_f64 v[0+0:7+0], v[vgprG2LB+32+0+2:vgprG2LB+32+0+2+1], v[246:247], v[0:7]
 // Cr += -Ai*Bi
/*  mfmaIndex:3  */
_ds_load_b128 v[vgprValuA_X1_I0+8:vgprValuA_X1_I0+8+3], v[vgprLocalReadAddrA] offset:5632 // L -> Reg lro=320 swapByteOffset=0 ti=16 vIdx=2 rIdx=0 oIdx=0 buffer=1 iui=0

/* global read inc B loopL */
s_add_u32 s[sgprSrdB+0], s[sgprSrdB+0], s[sgprGlobalReadIncsB+0] // gra SRD += inc(lower)
s_addc_u32  s[sgprSrdB+1], s[sgprSrdB+1], 0        // gra SRD += inc(upper)
s_sub_u32 s[sgprShadowLimitB+0], s[sgprShadowLimitB+0], s[sgprGlobalReadIncsB+0] // limit -= inc)
v_mfma_f64_16x16x4_f64 v[40+0:47+0], v[vgprG2LB+32+0+2:vgprG2LB+32+0+2+1], v[vgprValuA_X0_I0+0+0+0:vgprValuA_X0_I0+0+0+0+1], v[40:47]
 // Ci += Ar*Bi
/*  mfmaIndex:4  */
_ds_load_b128 v[vgprValuA_X1_I0+12:vgprValuA_X1_I0+12+3], v[vgprLocalReadAddrA] offset:5888 // L -> Reg lro=320 swapByteOffset=0 ti=16 vIdx=3 rIdx=0 oIdx=0 buffer=1 iui=0
s_subb_u32 s[sgprShadowLimitB+1], s[sgprShadowLimitB+1], 0 // limit -= inc)
s_cmp_eq_u32 s[sgprShadowLimitB+1], 0              // are we within 2^32?
s_cmov_b32 s[sgprSrdB+2], s[sgprShadowLimitB+0]    // Move shadow to real if we are within 2^32
v_add_f64 v[246:247], -v[vgprValuA_X0_I0+4+0+0+2:vgprValuA_X0_I0+4+0+0+2+1], 0 // Ai=-Ai
v_mfma_f64_16x16x4_f64 v[8+0:15+0], v[vgprG2LB+32+0:vgprG2LB+32+0+1], v[vgprValuA_X0_I0+4+0+0:vgprValuA_X0_I0+4+0+0+1], v[8:15]
 // Cr += Ar*Br
/*  mfmaIndex:5  */
_ds_load_b128 v[vgprValuA_X1_I0+16:vgprValuA_X1_I0+16+3], v[vgprLocalReadAddrA] offset:6144 // L -> Reg lro=320 swapByteOffset=0 ti=16 vIdx=4 rIdx=0 oIdx=0 buffer=1 iui=0
/* localReadsVacancy: latencyLeft 1 */
v_mfma_f64_16x16x4_f64 v[48+0:55+0], v[vgprG2LB+32+0:vgprG2LB+32+0+1], v[vgprValuA_X0_I0+4+0+0+2:vgprValuA_X0_I0+4+0+0+2+1], v[48:55]
 // Ci += Ai*Br
/*  mfmaIndex:6  */
/* localReadsVacancy: latencyLeft 5 */
v_mfma_f64_16x16x4_f64 v[8+0:15+0], v[vgprG2LB+32+0+2:vgprG2LB+32+0+2+1], v[246:247], v[8:15]
 // Cr += -Ai*Bi
/*  mfmaIndex:7  */
/* localReadsVacancy: latencyLeft 5 */
v_mfma_f64_16x16x4_f64 v[48+0:55+0], v[vgprG2LB+32+0+2:vgprG2LB+32+0+2+1], v[vgprValuA_X0_I0+4+0+0:vgprValuA_X0_I0+4+0+0+1], v[48:55]
 // Ci += Ar*Bi
/*  mfmaIndex:8  */
/* localReadsVacancy: latencyLeft 5 */
v_add_f64 v[246:247], -v[vgprValuA_X0_I0+8+0+0+2:vgprValuA_X0_I0+8+0+0+2+1], 0 // Ai=-Ai
v_mfma_f64_16x16x4_f64 v[16+0:23+0], v[vgprG2LB+32+0:vgprG2LB+32+0+1], v[vgprValuA_X0_I0+8+0+0:vgprValuA_X0_I0+8+0+0+1], v[16:23]
 // Cr += Ar*Br
/*  mfmaIndex:9  */
/* localReadsVacancy: latencyLeft 5 */
v_mfma_f64_16x16x4_f64 v[56+0:63+0], v[vgprG2LB+32+0:vgprG2LB+32+0+1], v[vgprValuA_X0_I0+8+0+0+2:vgprValuA_X0_I0+8+0+0+2+1], v[56:63]
 // Ci += Ai*Br
/*  mfmaIndex:10  */
/* localReadsVacancy: latencyLeft 5 */
v_mfma_f64_16x16x4_f64 v[16+0:23+0], v[vgprG2LB+32+0+2:vgprG2LB+32+0+2+1], v[246:247], v[16:23]
 // Cr += -Ai*Bi
/*  mfmaIndex:11  */
/* localReadsVacancy: latencyLeft 5 */
v_mfma_f64_16x16x4_f64 v[56+0:63+0], v[vgprG2LB+32+0+2:vgprG2LB+32+0+2+1], v[vgprValuA_X0_I0+8+0+0:vgprValuA_X0_I0+8+0+0+1], v[56:63]
 // Ci += Ar*Bi
/*  mfmaIndex:12  */
/* localReadsVacancy: latencyLeft 5 */
v_add_f64 v[246:247], -v[vgprValuA_X0_I0+12+0+0+2:vgprValuA_X0_I0+12+0+0+2+1], 0 // Ai=-Ai
v_mfma_f64_16x16x4_f64 v[24+0:31+0], v[vgprG2LB+32+0:vgprG2LB+32+0+1], v[vgprValuA_X0_I0+12+0+0:vgprValuA_X0_I0+12+0+0+1], v[24:31]
 // Cr += Ar*Br
/*  mfmaIndex:13  */
	;; [unrolled: 17-line block ×3, first 2 shown]
/* localReadsVacancy: latencyLeft 5 */
v_mfma_f64_16x16x4_f64 v[72+0:79+0], v[vgprG2LB+32+0:vgprG2LB+32+0+1], v[vgprValuA_X0_I0+16+0+0+2:vgprValuA_X0_I0+16+0+0+2+1], v[72:79]
 // Ci += Ai*Br
/*  mfmaIndex:18  */
/* localReadsVacancy: latencyLeft 5 */
v_mfma_f64_16x16x4_f64 v[32+0:39+0], v[vgprG2LB+32+0+2:vgprG2LB+32+0+2+1], v[246:247], v[32:39]
 // Cr += -Ai*Bi
/*  mfmaIndex:19  */
/* localReadsVacancy: latencyLeft 5 */
v_mfma_f64_16x16x4_f64 v[72+0:79+0], v[vgprG2LB+32+0+2:vgprG2LB+32+0+2+1], v[vgprValuA_X0_I0+16+0+0:vgprValuA_X0_I0+16+0+0+1], v[72:79]
 // Ci += Ar*Bi
/* numPrefetchIter=0 */
/* dataAtIterA=-1 numReadsIterA=1 skipReadsIterA=1 readsPerIterA=5 */
/* dataAtIterB=-1 numReadsIterB=1 skipReadsIterB=1 readsPerIterB=1 */


/* iter 1 */

s_waitcnt vmcnt(24)                                // lgkmcnt=-1 vmcnt=24global read wait for DirectToVgpr

/*  grEndMfmaIndex:4, lwStartMfmaIndex:131, lwEndMfmaIndex:139  */
/*  numMfmaForLR:10, barrierMfmaIndex:149, LocalWritePerMfma:1.060 */
/*  mfmaIndex:20  */
_ds_load_b128 v[vgprValuA_X0_I0+0:vgprValuA_X0_I0+0+3], v[vgprLocalReadAddrA] offset:10240 // L -> Reg lro=640 swapByteOffset=0 ti=16 vIdx=0 rIdx=0 oIdx=0 buffer=0 iui=0
s_waitcnt lgkmcnt(1)                               // lgkmcnt=0 vmcnt=-1wait for prior local read local write old=0, new=1 newLW=0 newLR=1
v_add_f64 v[246:247], -v[vgprValuA_X1_I0+0+0+0+2:vgprValuA_X1_I0+0+0+0+2+1], 0 // Ai=-Ai
v_mfma_f64_16x16x4_f64 v[0+0:7+0], v[vgprG2LB+36+0:vgprG2LB+36+0+1], v[vgprValuA_X1_I0+0+0+0:vgprValuA_X1_I0+0+0+0+1], v[0:7]
 // Cr += Ar*Br
/*  mfmaIndex:21  */
_ds_load_b128 v[vgprValuA_X0_I0+4:vgprValuA_X0_I0+4+3], v[vgprLocalReadAddrA] offset:10496 // L -> Reg lro=640 swapByteOffset=0 ti=16 vIdx=1 rIdx=0 oIdx=0 buffer=0 iui=0
v_mfma_f64_16x16x4_f64 v[40+0:47+0], v[vgprG2LB+36+0:vgprG2LB+36+0+1], v[vgprValuA_X1_I0+0+0+0+2:vgprValuA_X1_I0+0+0+0+2+1], v[40:47]
 // Ci += Ai*Br
/*  mfmaIndex:22  */
_ds_load_b128 v[vgprValuA_X0_I0+8:vgprValuA_X0_I0+8+3], v[vgprLocalReadAddrA] offset:10752 // L -> Reg lro=640 swapByteOffset=0 ti=16 vIdx=2 rIdx=0 oIdx=0 buffer=0 iui=0
v_mfma_f64_16x16x4_f64 v[0+0:7+0], v[vgprG2LB+36+0+2:vgprG2LB+36+0+2+1], v[246:247], v[0:7]
 // Cr += -Ai*Bi
/*  mfmaIndex:23  */
_ds_load_b128 v[vgprValuA_X0_I0+12:vgprValuA_X0_I0+12+3], v[vgprLocalReadAddrA] offset:11008 // L -> Reg lro=640 swapByteOffset=0 ti=16 vIdx=3 rIdx=0 oIdx=0 buffer=0 iui=0
v_mfma_f64_16x16x4_f64 v[40+0:47+0], v[vgprG2LB+36+0+2:vgprG2LB+36+0+2+1], v[vgprValuA_X1_I0+0+0+0:vgprValuA_X1_I0+0+0+0+1], v[40:47]
 // Ci += Ar*Bi
/*  mfmaIndex:24  */
_ds_load_b128 v[vgprValuA_X0_I0+16:vgprValuA_X0_I0+16+3], v[vgprLocalReadAddrA] offset:11264 // L -> Reg lro=640 swapByteOffset=0 ti=16 vIdx=4 rIdx=0 oIdx=0 buffer=0 iui=0
/* localReadsVacancy: latencyLeft 1 */
v_add_f64 v[246:247], -v[vgprValuA_X1_I0+4+0+0+2:vgprValuA_X1_I0+4+0+0+2+1], 0 // Ai=-Ai
v_mfma_f64_16x16x4_f64 v[8+0:15+0], v[vgprG2LB+36+0:vgprG2LB+36+0+1], v[vgprValuA_X1_I0+4+0+0:vgprValuA_X1_I0+4+0+0+1], v[8:15]
 // Cr += Ar*Br
/*  mfmaIndex:25  */
/* localReadsVacancy: latencyLeft 5 */
v_mfma_f64_16x16x4_f64 v[48+0:55+0], v[vgprG2LB+36+0:vgprG2LB+36+0+1], v[vgprValuA_X1_I0+4+0+0+2:vgprValuA_X1_I0+4+0+0+2+1], v[48:55]
 // Ci += Ai*Br
/*  mfmaIndex:26  */
/* localReadsVacancy: latencyLeft 5 */
v_mfma_f64_16x16x4_f64 v[8+0:15+0], v[vgprG2LB+36+0+2:vgprG2LB+36+0+2+1], v[246:247], v[8:15]
 // Cr += -Ai*Bi
/*  mfmaIndex:27  */
/* localReadsVacancy: latencyLeft 5 */
v_mfma_f64_16x16x4_f64 v[48+0:55+0], v[vgprG2LB+36+0+2:vgprG2LB+36+0+2+1], v[vgprValuA_X1_I0+4+0+0:vgprValuA_X1_I0+4+0+0+1], v[48:55]
 // Ci += Ar*Bi
/*  mfmaIndex:28  */
/* localReadsVacancy: latencyLeft 5 */
v_add_f64 v[246:247], -v[vgprValuA_X1_I0+8+0+0+2:vgprValuA_X1_I0+8+0+0+2+1], 0 // Ai=-Ai
v_mfma_f64_16x16x4_f64 v[16+0:23+0], v[vgprG2LB+36+0:vgprG2LB+36+0+1], v[vgprValuA_X1_I0+8+0+0:vgprValuA_X1_I0+8+0+0+1], v[16:23]
 // Cr += Ar*Br
/*  mfmaIndex:29  */
/* localReadsVacancy: latencyLeft 5 */
v_mfma_f64_16x16x4_f64 v[56+0:63+0], v[vgprG2LB+36+0:vgprG2LB+36+0+1], v[vgprValuA_X1_I0+8+0+0+2:vgprValuA_X1_I0+8+0+0+2+1], v[56:63]
 // Ci += Ai*Br
/*  mfmaIndex:30  */
/* localReadsVacancy: latencyLeft 5 */
v_mfma_f64_16x16x4_f64 v[16+0:23+0], v[vgprG2LB+36+0+2:vgprG2LB+36+0+2+1], v[246:247], v[16:23]
 // Cr += -Ai*Bi
/*  mfmaIndex:31  */
/* localReadsVacancy: latencyLeft 5 */
v_mfma_f64_16x16x4_f64 v[56+0:63+0], v[vgprG2LB+36+0+2:vgprG2LB+36+0+2+1], v[vgprValuA_X1_I0+8+0+0:vgprValuA_X1_I0+8+0+0+1], v[56:63]
 // Ci += Ar*Bi
/*  mfmaIndex:32  */
	;; [unrolled: 17-line block ×3, first 2 shown]
/* localReadsVacancy: latencyLeft 5 */
v_add_f64 v[246:247], -v[vgprValuA_X1_I0+16+0+0+2:vgprValuA_X1_I0+16+0+0+2+1], 0 // Ai=-Ai
v_mfma_f64_16x16x4_f64 v[32+0:39+0], v[vgprG2LB+36+0:vgprG2LB+36+0+1], v[vgprValuA_X1_I0+16+0+0:vgprValuA_X1_I0+16+0+0+1], v[32:39]
 // Cr += Ar*Br
/*  mfmaIndex:37  */
/* localReadsVacancy: latencyLeft 5 */
v_mfma_f64_16x16x4_f64 v[72+0:79+0], v[vgprG2LB+36+0:vgprG2LB+36+0+1], v[vgprValuA_X1_I0+16+0+0+2:vgprValuA_X1_I0+16+0+0+2+1], v[72:79]
 // Ci += Ai*Br
/*  mfmaIndex:38  */
/* localReadsVacancy: latencyLeft 5 */
v_mfma_f64_16x16x4_f64 v[32+0:39+0], v[vgprG2LB+36+0+2:vgprG2LB+36+0+2+1], v[246:247], v[32:39]
 // Cr += -Ai*Bi
/*  mfmaIndex:39  */
/* localReadsVacancy: latencyLeft 5 */
v_mfma_f64_16x16x4_f64 v[72+0:79+0], v[vgprG2LB+36+0+2:vgprG2LB+36+0+2+1], v[vgprValuA_X1_I0+16+0+0:vgprValuA_X1_I0+16+0+0+1], v[72:79]
 // Ci += Ar*Bi
/* numPrefetchIter=0 */
/* dataAtIterA=0 numReadsIterA=2 skipReadsIterA=1 readsPerIterA=5 */
/* dataAtIterB=0 numReadsIterB=2 skipReadsIterB=1 readsPerIterB=1 */


/* iter 2 */

s_waitcnt vmcnt(23)                                // lgkmcnt=-1 vmcnt=23global read wait for DirectToVgpr

/*  grEndMfmaIndex:4, lwStartMfmaIndex:131, lwEndMfmaIndex:139  */
/*  numMfmaForLR:10, barrierMfmaIndex:149, LocalWritePerMfma:1.060 */
/*  mfmaIndex:40  */
_ds_load_b128 v[vgprValuA_X1_I0+0:vgprValuA_X1_I0+0+3], v[vgprLocalReadAddrA] offset:15360 // L -> Reg lro=960 swapByteOffset=0 ti=16 vIdx=0 rIdx=0 oIdx=0 buffer=1 iui=0
s_waitcnt lgkmcnt(1)                               // lgkmcnt=0 vmcnt=-1wait for prior local read local write old=0, new=1 newLW=0 newLR=1
v_add_f64 v[246:247], -v[vgprValuA_X0_I0+0+0+0+2:vgprValuA_X0_I0+0+0+0+2+1], 0 // Ai=-Ai
v_mfma_f64_16x16x4_f64 v[0+0:7+0], v[vgprG2LB+40+0:vgprG2LB+40+0+1], v[vgprValuA_X0_I0+0+0+0:vgprValuA_X0_I0+0+0+0+1], v[0:7]
 // Cr += Ar*Br
/*  mfmaIndex:41  */
_ds_load_b128 v[vgprValuA_X1_I0+4:vgprValuA_X1_I0+4+3], v[vgprLocalReadAddrA] offset:15616 // L -> Reg lro=960 swapByteOffset=0 ti=16 vIdx=1 rIdx=0 oIdx=0 buffer=1 iui=0
v_mfma_f64_16x16x4_f64 v[40+0:47+0], v[vgprG2LB+40+0:vgprG2LB+40+0+1], v[vgprValuA_X0_I0+0+0+0+2:vgprValuA_X0_I0+0+0+0+2+1], v[40:47]
 // Ci += Ai*Br
/*  mfmaIndex:42  */
_ds_load_b128 v[vgprValuA_X1_I0+8:vgprValuA_X1_I0+8+3], v[vgprLocalReadAddrA] offset:15872 // L -> Reg lro=960 swapByteOffset=0 ti=16 vIdx=2 rIdx=0 oIdx=0 buffer=1 iui=0
v_mfma_f64_16x16x4_f64 v[0+0:7+0], v[vgprG2LB+40+0+2:vgprG2LB+40+0+2+1], v[246:247], v[0:7]
 // Cr += -Ai*Bi
/*  mfmaIndex:43  */
_ds_load_b128 v[vgprValuA_X1_I0+12:vgprValuA_X1_I0+12+3], v[vgprLocalReadAddrA] offset:16128 // L -> Reg lro=960 swapByteOffset=0 ti=16 vIdx=3 rIdx=0 oIdx=0 buffer=1 iui=0
v_mfma_f64_16x16x4_f64 v[40+0:47+0], v[vgprG2LB+40+0+2:vgprG2LB+40+0+2+1], v[vgprValuA_X0_I0+0+0+0:vgprValuA_X0_I0+0+0+0+1], v[40:47]
 // Ci += Ar*Bi
/*  mfmaIndex:44  */
_ds_load_b128 v[vgprValuA_X1_I0+16:vgprValuA_X1_I0+16+3], v[vgprLocalReadAddrA] offset:16384 // L -> Reg lro=960 swapByteOffset=0 ti=16 vIdx=4 rIdx=0 oIdx=0 buffer=1 iui=0
/* localReadsVacancy: latencyLeft 1 */
v_add_f64 v[246:247], -v[vgprValuA_X0_I0+4+0+0+2:vgprValuA_X0_I0+4+0+0+2+1], 0 // Ai=-Ai
v_mfma_f64_16x16x4_f64 v[8+0:15+0], v[vgprG2LB+40+0:vgprG2LB+40+0+1], v[vgprValuA_X0_I0+4+0+0:vgprValuA_X0_I0+4+0+0+1], v[8:15]
 // Cr += Ar*Br
/*  mfmaIndex:45  */
/* localReadsVacancy: latencyLeft 5 */
v_mfma_f64_16x16x4_f64 v[48+0:55+0], v[vgprG2LB+40+0:vgprG2LB+40+0+1], v[vgprValuA_X0_I0+4+0+0+2:vgprValuA_X0_I0+4+0+0+2+1], v[48:55]
 // Ci += Ai*Br
/*  mfmaIndex:46  */
/* localReadsVacancy: latencyLeft 5 */
v_mfma_f64_16x16x4_f64 v[8+0:15+0], v[vgprG2LB+40+0+2:vgprG2LB+40+0+2+1], v[246:247], v[8:15]
 // Cr += -Ai*Bi
/*  mfmaIndex:47  */
/* localReadsVacancy: latencyLeft 5 */
v_mfma_f64_16x16x4_f64 v[48+0:55+0], v[vgprG2LB+40+0+2:vgprG2LB+40+0+2+1], v[vgprValuA_X0_I0+4+0+0:vgprValuA_X0_I0+4+0+0+1], v[48:55]
 // Ci += Ar*Bi
/*  mfmaIndex:48  */
/* localReadsVacancy: latencyLeft 5 */
v_add_f64 v[246:247], -v[vgprValuA_X0_I0+8+0+0+2:vgprValuA_X0_I0+8+0+0+2+1], 0 // Ai=-Ai
v_mfma_f64_16x16x4_f64 v[16+0:23+0], v[vgprG2LB+40+0:vgprG2LB+40+0+1], v[vgprValuA_X0_I0+8+0+0:vgprValuA_X0_I0+8+0+0+1], v[16:23]
 // Cr += Ar*Br
/*  mfmaIndex:49  */
/* localReadsVacancy: latencyLeft 5 */
v_mfma_f64_16x16x4_f64 v[56+0:63+0], v[vgprG2LB+40+0:vgprG2LB+40+0+1], v[vgprValuA_X0_I0+8+0+0+2:vgprValuA_X0_I0+8+0+0+2+1], v[56:63]
 // Ci += Ai*Br
/*  mfmaIndex:50  */
/* localReadsVacancy: latencyLeft 5 */
v_mfma_f64_16x16x4_f64 v[16+0:23+0], v[vgprG2LB+40+0+2:vgprG2LB+40+0+2+1], v[246:247], v[16:23]
 // Cr += -Ai*Bi
/*  mfmaIndex:51  */
/* localReadsVacancy: latencyLeft 5 */
v_mfma_f64_16x16x4_f64 v[56+0:63+0], v[vgprG2LB+40+0+2:vgprG2LB+40+0+2+1], v[vgprValuA_X0_I0+8+0+0:vgprValuA_X0_I0+8+0+0+1], v[56:63]
 // Ci += Ar*Bi
/*  mfmaIndex:52  */
	;; [unrolled: 17-line block ×3, first 2 shown]
/* localReadsVacancy: latencyLeft 5 */
v_add_f64 v[246:247], -v[vgprValuA_X0_I0+16+0+0+2:vgprValuA_X0_I0+16+0+0+2+1], 0 // Ai=-Ai
v_mfma_f64_16x16x4_f64 v[32+0:39+0], v[vgprG2LB+40+0:vgprG2LB+40+0+1], v[vgprValuA_X0_I0+16+0+0:vgprValuA_X0_I0+16+0+0+1], v[32:39]
 // Cr += Ar*Br
/*  mfmaIndex:57  */
/* localReadsVacancy: latencyLeft 5 */
v_mfma_f64_16x16x4_f64 v[72+0:79+0], v[vgprG2LB+40+0:vgprG2LB+40+0+1], v[vgprValuA_X0_I0+16+0+0+2:vgprValuA_X0_I0+16+0+0+2+1], v[72:79]
 // Ci += Ai*Br
/*  mfmaIndex:58  */
/* localReadsVacancy: latencyLeft 5 */
v_mfma_f64_16x16x4_f64 v[32+0:39+0], v[vgprG2LB+40+0+2:vgprG2LB+40+0+2+1], v[246:247], v[32:39]
 // Cr += -Ai*Bi
/*  mfmaIndex:59  */
/* localReadsVacancy: latencyLeft 5 */
v_mfma_f64_16x16x4_f64 v[72+0:79+0], v[vgprG2LB+40+0+2:vgprG2LB+40+0+2+1], v[vgprValuA_X0_I0+16+0+0:vgprValuA_X0_I0+16+0+0+1], v[72:79]
 // Ci += Ar*Bi
/* numPrefetchIter=0 */
/* dataAtIterA=1 numReadsIterA=3 skipReadsIterA=1 readsPerIterA=5 */
/* dataAtIterB=1 numReadsIterB=3 skipReadsIterB=1 readsPerIterB=1 */


/* iter 3 */

s_waitcnt vmcnt(22)                                // lgkmcnt=-1 vmcnt=22global read wait for DirectToVgpr

/*  grEndMfmaIndex:4, lwStartMfmaIndex:131, lwEndMfmaIndex:139  */
/*  numMfmaForLR:10, barrierMfmaIndex:149, LocalWritePerMfma:1.060 */
/*  mfmaIndex:60  */
_ds_load_b128 v[vgprValuA_X0_I0+0:vgprValuA_X0_I0+0+3], v[vgprLocalReadAddrA] offset:20480 // L -> Reg lro=1280 swapByteOffset=0 ti=16 vIdx=0 rIdx=0 oIdx=0 buffer=0 iui=0
s_waitcnt lgkmcnt(1)                               // lgkmcnt=0 vmcnt=-1wait for prior local read local write old=0, new=1 newLW=0 newLR=1
v_add_f64 v[246:247], -v[vgprValuA_X1_I0+0+0+0+2:vgprValuA_X1_I0+0+0+0+2+1], 0 // Ai=-Ai
v_mfma_f64_16x16x4_f64 v[0+0:7+0], v[vgprG2LB+44+0:vgprG2LB+44+0+1], v[vgprValuA_X1_I0+0+0+0:vgprValuA_X1_I0+0+0+0+1], v[0:7]
 // Cr += Ar*Br
/*  mfmaIndex:61  */
_ds_load_b128 v[vgprValuA_X0_I0+4:vgprValuA_X0_I0+4+3], v[vgprLocalReadAddrA] offset:20736 // L -> Reg lro=1280 swapByteOffset=0 ti=16 vIdx=1 rIdx=0 oIdx=0 buffer=0 iui=0
v_mfma_f64_16x16x4_f64 v[40+0:47+0], v[vgprG2LB+44+0:vgprG2LB+44+0+1], v[vgprValuA_X1_I0+0+0+0+2:vgprValuA_X1_I0+0+0+0+2+1], v[40:47]
 // Ci += Ai*Br
/*  mfmaIndex:62  */
_ds_load_b128 v[vgprValuA_X0_I0+8:vgprValuA_X0_I0+8+3], v[vgprLocalReadAddrA] offset:20992 // L -> Reg lro=1280 swapByteOffset=0 ti=16 vIdx=2 rIdx=0 oIdx=0 buffer=0 iui=0
v_mfma_f64_16x16x4_f64 v[0+0:7+0], v[vgprG2LB+44+0+2:vgprG2LB+44+0+2+1], v[246:247], v[0:7]
 // Cr += -Ai*Bi
/*  mfmaIndex:63  */
_ds_load_b128 v[vgprValuA_X0_I0+12:vgprValuA_X0_I0+12+3], v[vgprLocalReadAddrA] offset:21248 // L -> Reg lro=1280 swapByteOffset=0 ti=16 vIdx=3 rIdx=0 oIdx=0 buffer=0 iui=0
v_mfma_f64_16x16x4_f64 v[40+0:47+0], v[vgprG2LB+44+0+2:vgprG2LB+44+0+2+1], v[vgprValuA_X1_I0+0+0+0:vgprValuA_X1_I0+0+0+0+1], v[40:47]
 // Ci += Ar*Bi
/*  mfmaIndex:64  */
_ds_load_b128 v[vgprValuA_X0_I0+16:vgprValuA_X0_I0+16+3], v[vgprLocalReadAddrA] offset:21504 // L -> Reg lro=1280 swapByteOffset=0 ti=16 vIdx=4 rIdx=0 oIdx=0 buffer=0 iui=0
/* localReadsVacancy: latencyLeft 1 */
v_add_f64 v[246:247], -v[vgprValuA_X1_I0+4+0+0+2:vgprValuA_X1_I0+4+0+0+2+1], 0 // Ai=-Ai
v_mfma_f64_16x16x4_f64 v[8+0:15+0], v[vgprG2LB+44+0:vgprG2LB+44+0+1], v[vgprValuA_X1_I0+4+0+0:vgprValuA_X1_I0+4+0+0+1], v[8:15]
 // Cr += Ar*Br
/*  mfmaIndex:65  */
/* localReadsVacancy: latencyLeft 5 */
v_mfma_f64_16x16x4_f64 v[48+0:55+0], v[vgprG2LB+44+0:vgprG2LB+44+0+1], v[vgprValuA_X1_I0+4+0+0+2:vgprValuA_X1_I0+4+0+0+2+1], v[48:55]
 // Ci += Ai*Br
/*  mfmaIndex:66  */
/* localReadsVacancy: latencyLeft 5 */
v_mfma_f64_16x16x4_f64 v[8+0:15+0], v[vgprG2LB+44+0+2:vgprG2LB+44+0+2+1], v[246:247], v[8:15]
 // Cr += -Ai*Bi
/*  mfmaIndex:67  */
/* localReadsVacancy: latencyLeft 5 */
v_mfma_f64_16x16x4_f64 v[48+0:55+0], v[vgprG2LB+44+0+2:vgprG2LB+44+0+2+1], v[vgprValuA_X1_I0+4+0+0:vgprValuA_X1_I0+4+0+0+1], v[48:55]
 // Ci += Ar*Bi
/*  mfmaIndex:68  */
/* localReadsVacancy: latencyLeft 5 */
v_add_f64 v[246:247], -v[vgprValuA_X1_I0+8+0+0+2:vgprValuA_X1_I0+8+0+0+2+1], 0 // Ai=-Ai
v_mfma_f64_16x16x4_f64 v[16+0:23+0], v[vgprG2LB+44+0:vgprG2LB+44+0+1], v[vgprValuA_X1_I0+8+0+0:vgprValuA_X1_I0+8+0+0+1], v[16:23]
 // Cr += Ar*Br
/*  mfmaIndex:69  */
/* localReadsVacancy: latencyLeft 5 */
v_mfma_f64_16x16x4_f64 v[56+0:63+0], v[vgprG2LB+44+0:vgprG2LB+44+0+1], v[vgprValuA_X1_I0+8+0+0+2:vgprValuA_X1_I0+8+0+0+2+1], v[56:63]
 // Ci += Ai*Br
/*  mfmaIndex:70  */
/* localReadsVacancy: latencyLeft 5 */
v_mfma_f64_16x16x4_f64 v[16+0:23+0], v[vgprG2LB+44+0+2:vgprG2LB+44+0+2+1], v[246:247], v[16:23]
 // Cr += -Ai*Bi
/*  mfmaIndex:71  */
/* localReadsVacancy: latencyLeft 5 */
v_mfma_f64_16x16x4_f64 v[56+0:63+0], v[vgprG2LB+44+0+2:vgprG2LB+44+0+2+1], v[vgprValuA_X1_I0+8+0+0:vgprValuA_X1_I0+8+0+0+1], v[56:63]
 // Ci += Ar*Bi
/*  mfmaIndex:72  */
/* localReadsVacancy: latencyLeft 5 */
v_add_f64 v[246:247], -v[vgprValuA_X1_I0+12+0+0+2:vgprValuA_X1_I0+12+0+0+2+1], 0 // Ai=-Ai
v_mfma_f64_16x16x4_f64 v[24+0:31+0], v[vgprG2LB+44+0:vgprG2LB+44+0+1], v[vgprValuA_X1_I0+12+0+0:vgprValuA_X1_I0+12+0+0+1], v[24:31]
 // Cr += Ar*Br
/*  mfmaIndex:73  */
/* localReadsVacancy: latencyLeft 5 */
v_mfma_f64_16x16x4_f64 v[64+0:71+0], v[vgprG2LB+44+0:vgprG2LB+44+0+1], v[vgprValuA_X1_I0+12+0+0+2:vgprValuA_X1_I0+12+0+0+2+1], v[64:71]
 // Ci += Ai*Br
/*  mfmaIndex:74  */
/* localReadsVacancy: latencyLeft 5 */
v_mfma_f64_16x16x4_f64 v[24+0:31+0], v[vgprG2LB+44+0+2:vgprG2LB+44+0+2+1], v[246:247], v[24:31]
 // Cr += -Ai*Bi
/*  mfmaIndex:75  */
/* localReadsVacancy: latencyLeft 5 */
v_mfma_f64_16x16x4_f64 v[64+0:71+0], v[vgprG2LB+44+0+2:vgprG2LB+44+0+2+1], v[vgprValuA_X1_I0+12+0+0:vgprValuA_X1_I0+12+0+0+1], v[64:71]
 // Ci += Ar*Bi
/*  mfmaIndex:76  */
/* localReadsVacancy: latencyLeft 5 */
v_add_f64 v[246:247], -v[vgprValuA_X1_I0+16+0+0+2:vgprValuA_X1_I0+16+0+0+2+1], 0 // Ai=-Ai
v_mfma_f64_16x16x4_f64 v[32+0:39+0], v[vgprG2LB+44+0:vgprG2LB+44+0+1], v[vgprValuA_X1_I0+16+0+0:vgprValuA_X1_I0+16+0+0+1], v[32:39]
 // Cr += Ar*Br
/*  mfmaIndex:77  */
/* localReadsVacancy: latencyLeft 5 */
v_mfma_f64_16x16x4_f64 v[72+0:79+0], v[vgprG2LB+44+0:vgprG2LB+44+0+1], v[vgprValuA_X1_I0+16+0+0+2:vgprValuA_X1_I0+16+0+0+2+1], v[72:79]
 // Ci += Ai*Br
/*  mfmaIndex:78  */
/* localReadsVacancy: latencyLeft 5 */
v_mfma_f64_16x16x4_f64 v[32+0:39+0], v[vgprG2LB+44+0+2:vgprG2LB+44+0+2+1], v[246:247], v[32:39]
 // Cr += -Ai*Bi
/*  mfmaIndex:79  */
/* localReadsVacancy: latencyLeft 5 */
v_mfma_f64_16x16x4_f64 v[72+0:79+0], v[vgprG2LB+44+0+2:vgprG2LB+44+0+2+1], v[vgprValuA_X1_I0+16+0+0:vgprValuA_X1_I0+16+0+0+1], v[72:79]
 // Ci += Ar*Bi
/* numPrefetchIter=0 */
/* dataAtIterA=2 numReadsIterA=4 skipReadsIterA=1 readsPerIterA=5 */
/* dataAtIterB=2 numReadsIterB=4 skipReadsIterB=1 readsPerIterB=1 */


/* iter 4 */

s_waitcnt vmcnt(21)                                // lgkmcnt=-1 vmcnt=21global read wait for DirectToVgpr

/*  grEndMfmaIndex:4, lwStartMfmaIndex:131, lwEndMfmaIndex:139  */
/*  numMfmaForLR:10, barrierMfmaIndex:149, LocalWritePerMfma:1.060 */
/*  mfmaIndex:80  */
_ds_load_b128 v[vgprValuA_X1_I0+0:vgprValuA_X1_I0+0+3], v[vgprLocalReadAddrA] offset:25600 // L -> Reg lro=1600 swapByteOffset=0 ti=16 vIdx=0 rIdx=0 oIdx=0 buffer=1 iui=0
s_waitcnt lgkmcnt(1)                               // lgkmcnt=0 vmcnt=-1wait for prior local read local write old=0, new=1 newLW=0 newLR=1
v_add_f64 v[246:247], -v[vgprValuA_X0_I0+0+0+0+2:vgprValuA_X0_I0+0+0+0+2+1], 0 // Ai=-Ai
v_mfma_f64_16x16x4_f64 v[0+0:7+0], v[vgprG2LB+48+0:vgprG2LB+48+0+1], v[vgprValuA_X0_I0+0+0+0:vgprValuA_X0_I0+0+0+0+1], v[0:7]
 // Cr += Ar*Br
/*  mfmaIndex:81  */
_ds_load_b128 v[vgprValuA_X1_I0+4:vgprValuA_X1_I0+4+3], v[vgprLocalReadAddrA] offset:25856 // L -> Reg lro=1600 swapByteOffset=0 ti=16 vIdx=1 rIdx=0 oIdx=0 buffer=1 iui=0
v_mfma_f64_16x16x4_f64 v[40+0:47+0], v[vgprG2LB+48+0:vgprG2LB+48+0+1], v[vgprValuA_X0_I0+0+0+0+2:vgprValuA_X0_I0+0+0+0+2+1], v[40:47]
 // Ci += Ai*Br
/*  mfmaIndex:82  */
_ds_load_b128 v[vgprValuA_X1_I0+8:vgprValuA_X1_I0+8+3], v[vgprLocalReadAddrA] offset:26112 // L -> Reg lro=1600 swapByteOffset=0 ti=16 vIdx=2 rIdx=0 oIdx=0 buffer=1 iui=0
v_mfma_f64_16x16x4_f64 v[0+0:7+0], v[vgprG2LB+48+0+2:vgprG2LB+48+0+2+1], v[246:247], v[0:7]
 // Cr += -Ai*Bi
/*  mfmaIndex:83  */
_ds_load_b128 v[vgprValuA_X1_I0+12:vgprValuA_X1_I0+12+3], v[vgprLocalReadAddrA] offset:26368 // L -> Reg lro=1600 swapByteOffset=0 ti=16 vIdx=3 rIdx=0 oIdx=0 buffer=1 iui=0
v_mfma_f64_16x16x4_f64 v[40+0:47+0], v[vgprG2LB+48+0+2:vgprG2LB+48+0+2+1], v[vgprValuA_X0_I0+0+0+0:vgprValuA_X0_I0+0+0+0+1], v[40:47]
 // Ci += Ar*Bi
/*  mfmaIndex:84  */
_ds_load_b128 v[vgprValuA_X1_I0+16:vgprValuA_X1_I0+16+3], v[vgprLocalReadAddrA] offset:26624 // L -> Reg lro=1600 swapByteOffset=0 ti=16 vIdx=4 rIdx=0 oIdx=0 buffer=1 iui=0
/* localReadsVacancy: latencyLeft 1 */
v_add_f64 v[246:247], -v[vgprValuA_X0_I0+4+0+0+2:vgprValuA_X0_I0+4+0+0+2+1], 0 // Ai=-Ai
v_mfma_f64_16x16x4_f64 v[8+0:15+0], v[vgprG2LB+48+0:vgprG2LB+48+0+1], v[vgprValuA_X0_I0+4+0+0:vgprValuA_X0_I0+4+0+0+1], v[8:15]
 // Cr += Ar*Br
/*  mfmaIndex:85  */
/* localReadsVacancy: latencyLeft 5 */
v_mfma_f64_16x16x4_f64 v[48+0:55+0], v[vgprG2LB+48+0:vgprG2LB+48+0+1], v[vgprValuA_X0_I0+4+0+0+2:vgprValuA_X0_I0+4+0+0+2+1], v[48:55]
 // Ci += Ai*Br
/*  mfmaIndex:86  */
/* localReadsVacancy: latencyLeft 5 */
v_mfma_f64_16x16x4_f64 v[8+0:15+0], v[vgprG2LB+48+0+2:vgprG2LB+48+0+2+1], v[246:247], v[8:15]
 // Cr += -Ai*Bi
/*  mfmaIndex:87  */
/* localReadsVacancy: latencyLeft 5 */
v_mfma_f64_16x16x4_f64 v[48+0:55+0], v[vgprG2LB+48+0+2:vgprG2LB+48+0+2+1], v[vgprValuA_X0_I0+4+0+0:vgprValuA_X0_I0+4+0+0+1], v[48:55]
 // Ci += Ar*Bi
/*  mfmaIndex:88  */
/* localReadsVacancy: latencyLeft 5 */
v_add_f64 v[246:247], -v[vgprValuA_X0_I0+8+0+0+2:vgprValuA_X0_I0+8+0+0+2+1], 0 // Ai=-Ai
v_mfma_f64_16x16x4_f64 v[16+0:23+0], v[vgprG2LB+48+0:vgprG2LB+48+0+1], v[vgprValuA_X0_I0+8+0+0:vgprValuA_X0_I0+8+0+0+1], v[16:23]
 // Cr += Ar*Br
/*  mfmaIndex:89  */
/* localReadsVacancy: latencyLeft 5 */
v_mfma_f64_16x16x4_f64 v[56+0:63+0], v[vgprG2LB+48+0:vgprG2LB+48+0+1], v[vgprValuA_X0_I0+8+0+0+2:vgprValuA_X0_I0+8+0+0+2+1], v[56:63]
 // Ci += Ai*Br
/*  mfmaIndex:90  */
/* localReadsVacancy: latencyLeft 5 */
v_mfma_f64_16x16x4_f64 v[16+0:23+0], v[vgprG2LB+48+0+2:vgprG2LB+48+0+2+1], v[246:247], v[16:23]
 // Cr += -Ai*Bi
/*  mfmaIndex:91  */
/* localReadsVacancy: latencyLeft 5 */
v_mfma_f64_16x16x4_f64 v[56+0:63+0], v[vgprG2LB+48+0+2:vgprG2LB+48+0+2+1], v[vgprValuA_X0_I0+8+0+0:vgprValuA_X0_I0+8+0+0+1], v[56:63]
 // Ci += Ar*Bi
/*  mfmaIndex:92  */
	;; [unrolled: 17-line block ×3, first 2 shown]
/* localReadsVacancy: latencyLeft 5 */
v_add_f64 v[246:247], -v[vgprValuA_X0_I0+16+0+0+2:vgprValuA_X0_I0+16+0+0+2+1], 0 // Ai=-Ai
v_mfma_f64_16x16x4_f64 v[32+0:39+0], v[vgprG2LB+48+0:vgprG2LB+48+0+1], v[vgprValuA_X0_I0+16+0+0:vgprValuA_X0_I0+16+0+0+1], v[32:39]
 // Cr += Ar*Br
/*  mfmaIndex:97  */
/* localReadsVacancy: latencyLeft 5 */
v_mfma_f64_16x16x4_f64 v[72+0:79+0], v[vgprG2LB+48+0:vgprG2LB+48+0+1], v[vgprValuA_X0_I0+16+0+0+2:vgprValuA_X0_I0+16+0+0+2+1], v[72:79]
 // Ci += Ai*Br
/*  mfmaIndex:98  */
/* localReadsVacancy: latencyLeft 5 */
v_mfma_f64_16x16x4_f64 v[32+0:39+0], v[vgprG2LB+48+0+2:vgprG2LB+48+0+2+1], v[246:247], v[32:39]
 // Cr += -Ai*Bi
/*  mfmaIndex:99  */
/* localReadsVacancy: latencyLeft 5 */
v_mfma_f64_16x16x4_f64 v[72+0:79+0], v[vgprG2LB+48+0+2:vgprG2LB+48+0+2+1], v[vgprValuA_X0_I0+16+0+0:vgprValuA_X0_I0+16+0+0+1], v[72:79]
 // Ci += Ar*Bi
/* numPrefetchIter=0 */
/* dataAtIterA=3 numReadsIterA=5 skipReadsIterA=1 readsPerIterA=5 */
/* dataAtIterB=3 numReadsIterB=5 skipReadsIterB=1 readsPerIterB=1 */


/* iter 5 */

s_waitcnt vmcnt(20)                                // lgkmcnt=-1 vmcnt=20global read wait for DirectToVgpr

/*  grEndMfmaIndex:4, lwStartMfmaIndex:131, lwEndMfmaIndex:139  */
/*  numMfmaForLR:10, barrierMfmaIndex:149, LocalWritePerMfma:1.060 */
/*  mfmaIndex:100  */
_ds_load_b128 v[vgprValuA_X0_I0+0:vgprValuA_X0_I0+0+3], v[vgprLocalReadAddrA] offset:30720 // L -> Reg lro=1920 swapByteOffset=0 ti=16 vIdx=0 rIdx=0 oIdx=0 buffer=0 iui=0
s_waitcnt lgkmcnt(1)                               // lgkmcnt=0 vmcnt=-1wait for prior local read local write old=0, new=1 newLW=0 newLR=1
v_add_f64 v[246:247], -v[vgprValuA_X1_I0+0+0+0+2:vgprValuA_X1_I0+0+0+0+2+1], 0 // Ai=-Ai
v_mfma_f64_16x16x4_f64 v[0+0:7+0], v[vgprG2LB+52+0:vgprG2LB+52+0+1], v[vgprValuA_X1_I0+0+0+0:vgprValuA_X1_I0+0+0+0+1], v[0:7]
 // Cr += Ar*Br
/*  mfmaIndex:101  */
_ds_load_b128 v[vgprValuA_X0_I0+4:vgprValuA_X0_I0+4+3], v[vgprLocalReadAddrA] offset:30976 // L -> Reg lro=1920 swapByteOffset=0 ti=16 vIdx=1 rIdx=0 oIdx=0 buffer=0 iui=0
v_mfma_f64_16x16x4_f64 v[40+0:47+0], v[vgprG2LB+52+0:vgprG2LB+52+0+1], v[vgprValuA_X1_I0+0+0+0+2:vgprValuA_X1_I0+0+0+0+2+1], v[40:47]
 // Ci += Ai*Br
/*  mfmaIndex:102  */
_ds_load_b128 v[vgprValuA_X0_I0+8:vgprValuA_X0_I0+8+3], v[vgprLocalReadAddrA] offset:31232 // L -> Reg lro=1920 swapByteOffset=0 ti=16 vIdx=2 rIdx=0 oIdx=0 buffer=0 iui=0
v_mfma_f64_16x16x4_f64 v[0+0:7+0], v[vgprG2LB+52+0+2:vgprG2LB+52+0+2+1], v[246:247], v[0:7]
 // Cr += -Ai*Bi
/*  mfmaIndex:103  */
_ds_load_b128 v[vgprValuA_X0_I0+12:vgprValuA_X0_I0+12+3], v[vgprLocalReadAddrA] offset:31488 // L -> Reg lro=1920 swapByteOffset=0 ti=16 vIdx=3 rIdx=0 oIdx=0 buffer=0 iui=0
v_mfma_f64_16x16x4_f64 v[40+0:47+0], v[vgprG2LB+52+0+2:vgprG2LB+52+0+2+1], v[vgprValuA_X1_I0+0+0+0:vgprValuA_X1_I0+0+0+0+1], v[40:47]
 // Ci += Ar*Bi
/*  mfmaIndex:104  */
_ds_load_b128 v[vgprValuA_X0_I0+16:vgprValuA_X0_I0+16+3], v[vgprLocalReadAddrA] offset:31744 // L -> Reg lro=1920 swapByteOffset=0 ti=16 vIdx=4 rIdx=0 oIdx=0 buffer=0 iui=0
/* localReadsVacancy: latencyLeft 1 */
v_add_f64 v[246:247], -v[vgprValuA_X1_I0+4+0+0+2:vgprValuA_X1_I0+4+0+0+2+1], 0 // Ai=-Ai
v_mfma_f64_16x16x4_f64 v[8+0:15+0], v[vgprG2LB+52+0:vgprG2LB+52+0+1], v[vgprValuA_X1_I0+4+0+0:vgprValuA_X1_I0+4+0+0+1], v[8:15]
 // Cr += Ar*Br
/*  mfmaIndex:105  */
/* localReadsVacancy: latencyLeft 5 */
v_mfma_f64_16x16x4_f64 v[48+0:55+0], v[vgprG2LB+52+0:vgprG2LB+52+0+1], v[vgprValuA_X1_I0+4+0+0+2:vgprValuA_X1_I0+4+0+0+2+1], v[48:55]
 // Ci += Ai*Br
/*  mfmaIndex:106  */
/* localReadsVacancy: latencyLeft 5 */
v_mfma_f64_16x16x4_f64 v[8+0:15+0], v[vgprG2LB+52+0+2:vgprG2LB+52+0+2+1], v[246:247], v[8:15]
 // Cr += -Ai*Bi
/*  mfmaIndex:107  */
/* localReadsVacancy: latencyLeft 5 */
v_mfma_f64_16x16x4_f64 v[48+0:55+0], v[vgprG2LB+52+0+2:vgprG2LB+52+0+2+1], v[vgprValuA_X1_I0+4+0+0:vgprValuA_X1_I0+4+0+0+1], v[48:55]
 // Ci += Ar*Bi
/*  mfmaIndex:108  */
/* localReadsVacancy: latencyLeft 5 */
v_add_f64 v[246:247], -v[vgprValuA_X1_I0+8+0+0+2:vgprValuA_X1_I0+8+0+0+2+1], 0 // Ai=-Ai
v_mfma_f64_16x16x4_f64 v[16+0:23+0], v[vgprG2LB+52+0:vgprG2LB+52+0+1], v[vgprValuA_X1_I0+8+0+0:vgprValuA_X1_I0+8+0+0+1], v[16:23]
 // Cr += Ar*Br
/*  mfmaIndex:109  */
/* localReadsVacancy: latencyLeft 5 */
v_mfma_f64_16x16x4_f64 v[56+0:63+0], v[vgprG2LB+52+0:vgprG2LB+52+0+1], v[vgprValuA_X1_I0+8+0+0+2:vgprValuA_X1_I0+8+0+0+2+1], v[56:63]
 // Ci += Ai*Br
/*  mfmaIndex:110  */
/* localReadsVacancy: latencyLeft 5 */
v_mfma_f64_16x16x4_f64 v[16+0:23+0], v[vgprG2LB+52+0+2:vgprG2LB+52+0+2+1], v[246:247], v[16:23]
 // Cr += -Ai*Bi
/*  mfmaIndex:111  */
/* localReadsVacancy: latencyLeft 5 */
v_mfma_f64_16x16x4_f64 v[56+0:63+0], v[vgprG2LB+52+0+2:vgprG2LB+52+0+2+1], v[vgprValuA_X1_I0+8+0+0:vgprValuA_X1_I0+8+0+0+1], v[56:63]
 // Ci += Ar*Bi
/*  mfmaIndex:112  */
/* localReadsVacancy: latencyLeft 5 */
v_add_f64 v[246:247], -v[vgprValuA_X1_I0+12+0+0+2:vgprValuA_X1_I0+12+0+0+2+1], 0 // Ai=-Ai
v_mfma_f64_16x16x4_f64 v[24+0:31+0], v[vgprG2LB+52+0:vgprG2LB+52+0+1], v[vgprValuA_X1_I0+12+0+0:vgprValuA_X1_I0+12+0+0+1], v[24:31]
 // Cr += Ar*Br
/*  mfmaIndex:113  */
/* localReadsVacancy: latencyLeft 5 */
v_mfma_f64_16x16x4_f64 v[64+0:71+0], v[vgprG2LB+52+0:vgprG2LB+52+0+1], v[vgprValuA_X1_I0+12+0+0+2:vgprValuA_X1_I0+12+0+0+2+1], v[64:71]
 // Ci += Ai*Br
/*  mfmaIndex:114  */
/* localReadsVacancy: latencyLeft 5 */
v_mfma_f64_16x16x4_f64 v[24+0:31+0], v[vgprG2LB+52+0+2:vgprG2LB+52+0+2+1], v[246:247], v[24:31]
 // Cr += -Ai*Bi
/*  mfmaIndex:115  */
/* localReadsVacancy: latencyLeft 5 */
v_mfma_f64_16x16x4_f64 v[64+0:71+0], v[vgprG2LB+52+0+2:vgprG2LB+52+0+2+1], v[vgprValuA_X1_I0+12+0+0:vgprValuA_X1_I0+12+0+0+1], v[64:71]
 // Ci += Ar*Bi
/*  mfmaIndex:116  */
/* localReadsVacancy: latencyLeft 5 */
v_add_f64 v[246:247], -v[vgprValuA_X1_I0+16+0+0+2:vgprValuA_X1_I0+16+0+0+2+1], 0 // Ai=-Ai
v_mfma_f64_16x16x4_f64 v[32+0:39+0], v[vgprG2LB+52+0:vgprG2LB+52+0+1], v[vgprValuA_X1_I0+16+0+0:vgprValuA_X1_I0+16+0+0+1], v[32:39]
 // Cr += Ar*Br
/*  mfmaIndex:117  */
/* localReadsVacancy: latencyLeft 5 */
v_mfma_f64_16x16x4_f64 v[72+0:79+0], v[vgprG2LB+52+0:vgprG2LB+52+0+1], v[vgprValuA_X1_I0+16+0+0+2:vgprValuA_X1_I0+16+0+0+2+1], v[72:79]
 // Ci += Ai*Br
/*  mfmaIndex:118  */
/* localReadsVacancy: latencyLeft 5 */
v_mfma_f64_16x16x4_f64 v[32+0:39+0], v[vgprG2LB+52+0+2:vgprG2LB+52+0+2+1], v[246:247], v[32:39]
 // Cr += -Ai*Bi
/*  mfmaIndex:119  */
/* localReadsVacancy: latencyLeft 5 */
v_mfma_f64_16x16x4_f64 v[72+0:79+0], v[vgprG2LB+52+0+2:vgprG2LB+52+0+2+1], v[vgprValuA_X1_I0+16+0+0:vgprValuA_X1_I0+16+0+0+1], v[72:79]
 // Ci += Ar*Bi
/* numPrefetchIter=0 */
/* dataAtIterA=4 numReadsIterA=6 skipReadsIterA=1 readsPerIterA=5 */
/* dataAtIterB=4 numReadsIterB=6 skipReadsIterB=1 readsPerIterB=1 */


/* iter 6 (reset local read pointers iteration)  (swap and reset local write pointers iteration)  (swap local read pointers iteration)  */

s_waitcnt vmcnt(19)                                // lgkmcnt=-1 vmcnt=19global read wait for DirectToVgpr

/*  grEndMfmaIndex:4, lwStartMfmaIndex:131, lwEndMfmaIndex:139  */
/*  numMfmaForLR:10, barrierMfmaIndex:149, LocalWritePerMfma:1.060 */
/*  mfmaIndex:120  */
_ds_load_b128 v[vgprValuA_X1_I0+0:vgprValuA_X1_I0+0+3], v[vgprLocalReadAddrA] offset:35840 // L -> Reg lro=2240 swapByteOffset=0 ti=16 vIdx=0 rIdx=0 oIdx=0 buffer=1 iui=0
s_waitcnt lgkmcnt(1)                               // lgkmcnt=0 vmcnt=-1wait for prior local read local write old=0, new=1 newLW=0 newLR=1
v_add_f64 v[246:247], -v[vgprValuA_X0_I0+0+0+0+2:vgprValuA_X0_I0+0+0+0+2+1], 0 // Ai=-Ai
v_mfma_f64_16x16x4_f64 v[0+0:7+0], v[vgprG2LB+56+0:vgprG2LB+56+0+1], v[vgprValuA_X0_I0+0+0+0:vgprValuA_X0_I0+0+0+0+1], v[0:7]
 // Cr += Ar*Br
/*  mfmaIndex:121  */
_ds_load_b128 v[vgprValuA_X1_I0+4:vgprValuA_X1_I0+4+3], v[vgprLocalReadAddrA] offset:36096 // L -> Reg lro=2240 swapByteOffset=0 ti=16 vIdx=1 rIdx=0 oIdx=0 buffer=1 iui=0
v_mfma_f64_16x16x4_f64 v[40+0:47+0], v[vgprG2LB+56+0:vgprG2LB+56+0+1], v[vgprValuA_X0_I0+0+0+0+2:vgprValuA_X0_I0+0+0+0+2+1], v[40:47]
 // Ci += Ai*Br
/*  mfmaIndex:122  */
_ds_load_b128 v[vgprValuA_X1_I0+8:vgprValuA_X1_I0+8+3], v[vgprLocalReadAddrA] offset:36352 // L -> Reg lro=2240 swapByteOffset=0 ti=16 vIdx=2 rIdx=0 oIdx=0 buffer=1 iui=0
v_mfma_f64_16x16x4_f64 v[0+0:7+0], v[vgprG2LB+56+0+2:vgprG2LB+56+0+2+1], v[246:247], v[0:7]
 // Cr += -Ai*Bi
/*  mfmaIndex:123  */
_ds_load_b128 v[vgprValuA_X1_I0+12:vgprValuA_X1_I0+12+3], v[vgprLocalReadAddrA] offset:36608 // L -> Reg lro=2240 swapByteOffset=0 ti=16 vIdx=3 rIdx=0 oIdx=0 buffer=1 iui=0
v_mfma_f64_16x16x4_f64 v[40+0:47+0], v[vgprG2LB+56+0+2:vgprG2LB+56+0+2+1], v[vgprValuA_X0_I0+0+0+0:vgprValuA_X0_I0+0+0+0+1], v[40:47]
 // Ci += Ar*Bi
/*  mfmaIndex:124  */
_ds_load_b128 v[vgprValuA_X1_I0+16:vgprValuA_X1_I0+16+3], v[vgprLocalReadAddrA] offset:36864 // L -> Reg lro=2240 swapByteOffset=0 ti=16 vIdx=4 rIdx=0 oIdx=0 buffer=1 iui=0
/* localReadsVacancy: latencyLeft 1 */
v_add_f64 v[246:247], -v[vgprValuA_X0_I0+4+0+0+2:vgprValuA_X0_I0+4+0+0+2+1], 0 // Ai=-Ai
v_mfma_f64_16x16x4_f64 v[8+0:15+0], v[vgprG2LB+56+0:vgprG2LB+56+0+1], v[vgprValuA_X0_I0+4+0+0:vgprValuA_X0_I0+4+0+0+1], v[8:15]
 // Cr += Ar*Br
/*  mfmaIndex:125  */
/* localReadsVacancy: latencyLeft 5 */
v_mfma_f64_16x16x4_f64 v[48+0:55+0], v[vgprG2LB+56+0:vgprG2LB+56+0+1], v[vgprValuA_X0_I0+4+0+0+2:vgprValuA_X0_I0+4+0+0+2+1], v[48:55]
 // Ci += Ai*Br
/*  mfmaIndex:126  */
/* localReadsVacancy: latencyLeft 5 */
v_mfma_f64_16x16x4_f64 v[8+0:15+0], v[vgprG2LB+56+0+2:vgprG2LB+56+0+2+1], v[246:247], v[8:15]
 // Cr += -Ai*Bi
/*  mfmaIndex:127  */
/* localReadsVacancy: latencyLeft 5 */
v_mfma_f64_16x16x4_f64 v[48+0:55+0], v[vgprG2LB+56+0+2:vgprG2LB+56+0+2+1], v[vgprValuA_X0_I0+4+0+0:vgprValuA_X0_I0+4+0+0+1], v[48:55]
 // Ci += Ar*Bi
/*  mfmaIndex:128  */
/* localReadsVacancy: latencyLeft 5 */
v_add_f64 v[246:247], -v[vgprValuA_X0_I0+8+0+0+2:vgprValuA_X0_I0+8+0+0+2+1], 0 // Ai=-Ai
v_mfma_f64_16x16x4_f64 v[16+0:23+0], v[vgprG2LB+56+0:vgprG2LB+56+0+1], v[vgprValuA_X0_I0+8+0+0:vgprValuA_X0_I0+8+0+0+1], v[16:23]
 // Cr += Ar*Br
/*  mfmaIndex:129  */
/* localReadsVacancy: latencyLeft 5 */
v_mfma_f64_16x16x4_f64 v[56+0:63+0], v[vgprG2LB+56+0:vgprG2LB+56+0+1], v[vgprValuA_X0_I0+8+0+0+2:vgprValuA_X0_I0+8+0+0+2+1], v[56:63]
 // Ci += Ai*Br
/*  mfmaIndex:130  */
/* localReadsVacancy: latencyLeft 5 */
/* 1 LDS buffer: read-sync-write */
s_waitcnt lgkmcnt(0)                               // 
s_barrier                                          // 
v_mfma_f64_16x16x4_f64 v[16+0:23+0], v[vgprG2LB+56+0+2:vgprG2LB+56+0+2+1], v[246:247], v[16:23]
 // Cr += -Ai*Bi
/*  mfmaIndex:131  */
/* sched write - iter 6 writesPerItem=1 */
s_waitcnt vmcnt(0)                                 // lgkmcnt=-1 vmcnt=0wait for global read before writing to local
_ds_store_b128 v[vgprLocalWriteAddrA], v[vgprG2LA+0:vgprG2LA+0+3] offset:0 // lwoA_0_0_0_0 = (0*LSCA) + (0*LSPA)(*MT0I+PAD) = 0
_buffer_load_b128 v[vgprG2LA+0:vgprG2LA+0+3], v[vgprGlobalReadOffsetA+0], s[sgprSrdA:sgprSrdA+3], 0, offen offset:0 // G -> Reg 0_0_0_0
/* sched write - iter 6 writesPerItem=1 */
s_waitcnt vmcnt(0)                                 // lgkmcnt=-1 vmcnt=0wait for global read before writing to local
_ds_store_b128 v[vgprLocalWriteAddrA], v[vgprG2LA+4:vgprG2LA+4+3] offset:256 // lwoA_1_0_0_0 = (1*LSCA) + (0*LSPA)(*MT0I+PAD) = 256
v_mfma_f64_16x16x4_f64 v[56+0:63+0], v[vgprG2LB+56+0+2:vgprG2LB+56+0+2+1], v[vgprValuA_X0_I0+8+0+0:vgprValuA_X0_I0+8+0+0+1], v[56:63]
 // Ci += Ar*Bi
/*  mfmaIndex:132  */
_buffer_load_b128 v[vgprG2LA+4:vgprG2LA+4+3], v[vgprGlobalReadOffsetA+1], s[sgprSrdA:sgprSrdA+3], 0, offen offset:0 // G -> Reg 1_0_0_0
/* sched write - iter 6 writesPerItem=1 */
s_waitcnt vmcnt(0)                                 // lgkmcnt=-1 vmcnt=0wait for global read before writing to local
_ds_store_b128 v[vgprLocalWriteAddrA], v[vgprG2LA+8:vgprG2LA+8+3] offset:512 // lwoA_2_0_0_0 = (2*LSCA) + (0*LSPA)(*MT0I+PAD) = 512
_buffer_load_b128 v[vgprG2LA+8:vgprG2LA+8+3], v[vgprGlobalReadOffsetA+2], s[sgprSrdA:sgprSrdA+3], 0, offen offset:0 // G -> Reg 2_0_0_0
v_add_f64 v[246:247], -v[vgprValuA_X0_I0+12+0+0+2:vgprValuA_X0_I0+12+0+0+2+1], 0 // Ai=-Ai
v_mfma_f64_16x16x4_f64 v[24+0:31+0], v[vgprG2LB+56+0:vgprG2LB+56+0+1], v[vgprValuA_X0_I0+12+0+0:vgprValuA_X0_I0+12+0+0+1], v[24:31]
 // Cr += Ar*Br
/*  mfmaIndex:133  */
/* sched write - iter 6 writesPerItem=1 */
s_waitcnt vmcnt(0)                                 // lgkmcnt=-1 vmcnt=0wait for global read before writing to local
_ds_store_b128 v[vgprLocalWriteAddrA], v[vgprG2LA+12:vgprG2LA+12+3] offset:768 // lwoA_3_0_0_0 = (3*LSCA) + (0*LSPA)(*MT0I+PAD) = 768
_buffer_load_b128 v[vgprG2LA+12:vgprG2LA+12+3], v[vgprGlobalReadOffsetA+3], s[sgprSrdA:sgprSrdA+3], 0, offen offset:0 // G -> Reg 3_0_0_0
v_mfma_f64_16x16x4_f64 v[64+0:71+0], v[vgprG2LB+56+0:vgprG2LB+56+0+1], v[vgprValuA_X0_I0+12+0+0+2:vgprValuA_X0_I0+12+0+0+2+1], v[64:71]
 // Ci += Ai*Br
/*  mfmaIndex:134  */
/* sched write - iter 6 writesPerItem=1 */
s_waitcnt vmcnt(0)                                 // lgkmcnt=-1 vmcnt=0wait for global read before writing to local
_ds_store_b128 v[vgprLocalWriteAddrA], v[vgprG2LA+16:vgprG2LA+16+3] offset:1024 // lwoA_4_0_0_0 = (4*LSCA) + (0*LSPA)(*MT0I+PAD) = 1024
_buffer_load_b128 v[vgprG2LA+16:vgprG2LA+16+3], v[vgprGlobalReadOffsetA+4], s[sgprSrdA:sgprSrdA+3], 0, offen offset:0 // G -> Reg 4_0_0_0
v_mfma_f64_16x16x4_f64 v[24+0:31+0], v[vgprG2LB+56+0+2:vgprG2LB+56+0+2+1], v[246:247], v[24:31]
 // Cr += -Ai*Bi
/*  mfmaIndex:135  */
/* sched write - iter 6 writesPerItem=1 */
s_waitcnt vmcnt(0)                                 // lgkmcnt=-1 vmcnt=0wait for global read before writing to local
_ds_store_b128 v[vgprLocalWriteAddrA], v[vgprG2LA+20:vgprG2LA+20+3] offset:20480 // lwoA_0_0_1_0 = (0*LSCA) + (1*LSPA)(*MT0I+PAD) = 20480
_buffer_load_b128 v[vgprG2LA+20:vgprG2LA+20+3], v[vgprGlobalReadOffsetA+5], s[sgprSrdA:sgprSrdA+3], 0, offen offset:0 // G -> Reg 0_0_1_0
v_mfma_f64_16x16x4_f64 v[64+0:71+0], v[vgprG2LB+56+0+2:vgprG2LB+56+0+2+1], v[vgprValuA_X0_I0+12+0+0:vgprValuA_X0_I0+12+0+0+1], v[64:71]
 // Ci += Ar*Bi
/*  mfmaIndex:136  */
/* sched write - iter 6 writesPerItem=1 */
s_waitcnt vmcnt(0)                                 // lgkmcnt=-1 vmcnt=0wait for global read before writing to local
_ds_store_b128 v[vgprLocalWriteAddrA], v[vgprG2LA+24:vgprG2LA+24+3] offset:20736 // lwoA_1_0_1_0 = (1*LSCA) + (1*LSPA)(*MT0I+PAD) = 20736
_buffer_load_b128 v[vgprG2LA+24:vgprG2LA+24+3], v[vgprGlobalReadOffsetA+6], s[sgprSrdA:sgprSrdA+3], 0, offen offset:0 // G -> Reg 1_0_1_0
v_add_f64 v[246:247], -v[vgprValuA_X0_I0+16+0+0+2:vgprValuA_X0_I0+16+0+0+2+1], 0 // Ai=-Ai
v_mfma_f64_16x16x4_f64 v[32+0:39+0], v[vgprG2LB+56+0:vgprG2LB+56+0+1], v[vgprValuA_X0_I0+16+0+0:vgprValuA_X0_I0+16+0+0+1], v[32:39]
 // Cr += Ar*Br
/*  mfmaIndex:137  */
/* sched write - iter 6 writesPerItem=1 */
s_waitcnt vmcnt(0)                                 // lgkmcnt=-1 vmcnt=0wait for global read before writing to local
_ds_store_b128 v[vgprLocalWriteAddrA], v[vgprG2LA+28:vgprG2LA+28+3] offset:20992 // lwoA_2_0_1_0 = (2*LSCA) + (1*LSPA)(*MT0I+PAD) = 20992
_buffer_load_b128 v[vgprG2LA+28:vgprG2LA+28+3], v[vgprGlobalReadOffsetA+7], s[sgprSrdA:sgprSrdA+3], 0, offen offset:0 // G -> Reg 2_0_1_0
v_mfma_f64_16x16x4_f64 v[72+0:79+0], v[vgprG2LB+56+0:vgprG2LB+56+0+1], v[vgprValuA_X0_I0+16+0+0+2:vgprValuA_X0_I0+16+0+0+2+1], v[72:79]
 // Ci += Ai*Br
/*  mfmaIndex:138  */
/* sched write - iter 6 writesPerItem=1 */
s_waitcnt vmcnt(0)                                 // lgkmcnt=-1 vmcnt=0wait for global read before writing to local
_ds_store_b128 v[vgprLocalWriteAddrA], v[vgprG2LA+32:vgprG2LA+32+3] offset:21248 // lwoA_3_0_1_0 = (3*LSCA) + (1*LSPA)(*MT0I+PAD) = 21248
_buffer_load_b128 v[vgprG2LA+32:vgprG2LA+32+3], v[vgprGlobalReadOffsetA+8], s[sgprSrdA:sgprSrdA+3], 0, offen offset:0 // G -> Reg 3_0_1_0
v_mfma_f64_16x16x4_f64 v[32+0:39+0], v[vgprG2LB+56+0+2:vgprG2LB+56+0+2+1], v[246:247], v[32:39]
 // Cr += -Ai*Bi
/*  mfmaIndex:139  */
/* sched write - iter 6 writesPerItem=1 */
s_waitcnt vmcnt(0)                                 // lgkmcnt=-1 vmcnt=0wait for global read before writing to local
_ds_store_b128 v[vgprLocalWriteAddrA], v[vgprG2LA+36:vgprG2LA+36+3] offset:21504 // lwoA_4_0_1_0 = (4*LSCA) + (1*LSPA)(*MT0I+PAD) = 21504
_buffer_load_b128 v[vgprG2LA+36:vgprG2LA+36+3], v[vgprGlobalReadOffsetA+9], s[sgprSrdA:sgprSrdA+3], 0, offen offset:0 // G -> Reg 4_0_1_0

/* local write swap offsets a */

/* local write swap offsets b */

/* local read swap offsets a */

/* local read swap offsets b */

/* local read init pointers a */

/* localReadInitPointers */

/* local read init pointers b */
v_mfma_f64_16x16x4_f64 v[72+0:79+0], v[vgprG2LB+56+0+2:vgprG2LB+56+0+2+1], v[vgprValuA_X0_I0+16+0+0:vgprValuA_X0_I0+16+0+0+1], v[72:79]
 // Ci += Ar*Bi
/* numPrefetchIter=0 */
/* dataAtIterA=5 numReadsIterA=7 skipReadsIterA=1 readsPerIterA=5 */
/* dataAtIterB=5 numReadsIterB=7 skipReadsIterB=1 readsPerIterB=1 */


/* iter 7 */

/*  grEndMfmaIndex:4, lwStartMfmaIndex:131, lwEndMfmaIndex:139  */
/*  numMfmaForLR:10, barrierMfmaIndex:149, LocalWritePerMfma:1.060 */
/*  mfmaIndex:140  */
s_waitcnt lgkmcnt(10)                              // lgkmcnt=0 vmcnt=-1wait for prior local read local write old=0, new=10 newLW=10 newLR=0
v_add_f64 v[246:247], -v[vgprValuA_X1_I0+0+0+0+2:vgprValuA_X1_I0+0+0+0+2+1], 0 // Ai=-Ai
v_mfma_f64_16x16x4_f64 v[0+0:7+0], v[vgprG2LB+60+0:vgprG2LB+60+0+1], v[vgprValuA_X1_I0+0+0+0:vgprValuA_X1_I0+0+0+0+1], v[0:7]
 // Cr += Ar*Br
_buffer_load_b128 v[vgprG2LB1+0:vgprG2LB1+0+3], v[vgprGlobalReadOffsetB+0], s[sgprSrdB:sgprSrdB+3], 0, offen offset:0 // G -> Reg 0_0_0_0
/*  mfmaIndex:141  */
v_mfma_f64_16x16x4_f64 v[40+0:47+0], v[vgprG2LB+60+0:vgprG2LB+60+0+1], v[vgprValuA_X1_I0+0+0+0+2:vgprValuA_X1_I0+0+0+0+2+1], v[40:47]
 // Ci += Ai*Br
_buffer_load_b128 v[vgprG2LB1+4:vgprG2LB1+4+3], v[vgprGlobalReadOffsetB+1], s[sgprSrdB:sgprSrdB+3], 0, offen offset:0 // G -> Reg 0_0_1_0
/*  mfmaIndex:142  */
v_mfma_f64_16x16x4_f64 v[0+0:7+0], v[vgprG2LB+60+0+2:vgprG2LB+60+0+2+1], v[246:247], v[0:7]
 // Cr += -Ai*Bi
/*  mfmaIndex:143  */
v_mfma_f64_16x16x4_f64 v[40+0:47+0], v[vgprG2LB+60+0+2:vgprG2LB+60+0+2+1], v[vgprValuA_X1_I0+0+0+0:vgprValuA_X1_I0+0+0+0+1], v[40:47]
 // Ci += Ar*Bi
/*  mfmaIndex:144  */
v_add_f64 v[246:247], -v[vgprValuA_X1_I0+4+0+0+2:vgprValuA_X1_I0+4+0+0+2+1], 0 // Ai=-Ai
v_mfma_f64_16x16x4_f64 v[8+0:15+0], v[vgprG2LB+60+0:vgprG2LB+60+0+1], v[vgprValuA_X1_I0+4+0+0:vgprValuA_X1_I0+4+0+0+1], v[8:15]
 // Cr += Ar*Br
_buffer_load_b128 v[vgprG2LB1+8:vgprG2LB1+8+3], v[vgprGlobalReadOffsetB+2], s[sgprSrdB:sgprSrdB+3], 0, offen offset:0 // G -> Reg 0_0_2_0
/*  mfmaIndex:145  */
v_mfma_f64_16x16x4_f64 v[48+0:55+0], v[vgprG2LB+60+0:vgprG2LB+60+0+1], v[vgprValuA_X1_I0+4+0+0+2:vgprValuA_X1_I0+4+0+0+2+1], v[48:55]
 // Ci += Ai*Br
/*  mfmaIndex:146  */
v_mfma_f64_16x16x4_f64 v[8+0:15+0], v[vgprG2LB+60+0+2:vgprG2LB+60+0+2+1], v[246:247], v[8:15]
 // Cr += -Ai*Bi
/*  mfmaIndex:147  */
v_mfma_f64_16x16x4_f64 v[48+0:55+0], v[vgprG2LB+60+0+2:vgprG2LB+60+0+2+1], v[vgprValuA_X1_I0+4+0+0:vgprValuA_X1_I0+4+0+0+1], v[48:55]
 // Ci += Ar*Bi
_buffer_load_b128 v[vgprG2LB1+12:vgprG2LB1+12+3], v[vgprGlobalReadOffsetB+3], s[sgprSrdB:sgprSrdB+3], 0, offen offset:0 // G -> Reg 0_0_3_0
/*  mfmaIndex:148  */
v_add_f64 v[246:247], -v[vgprValuA_X1_I0+8+0+0+2:vgprValuA_X1_I0+8+0+0+2+1], 0 // Ai=-Ai
v_mfma_f64_16x16x4_f64 v[16+0:23+0], v[vgprG2LB+60+0:vgprG2LB+60+0+1], v[vgprValuA_X1_I0+8+0+0:vgprValuA_X1_I0+8+0+0+1], v[16:23]
 // Cr += Ar*Br
/*  mfmaIndex:149  */
s_waitcnt lgkmcnt(0)                               // lgkmcnt=0 vmcnt=-13wait for local write
s_barrier
v_mfma_f64_16x16x4_f64 v[56+0:63+0], v[vgprG2LB+60+0:vgprG2LB+60+0+1], v[vgprValuA_X1_I0+8+0+0+2:vgprValuA_X1_I0+8+0+0+2+1], v[56:63]
 // Ci += Ai*Br
/*  mfmaIndex:150  */
_ds_load_b128 v[vgprValuA_X0_I0+0:vgprValuA_X0_I0+0+3], v[vgprLocalReadAddrA] offset:0 // L -> Reg lro=0 swapByteOffset=0 ti=16 vIdx=0 rIdx=0 oIdx=0 buffer=0 iui=0
v_mfma_f64_16x16x4_f64 v[16+0:23+0], v[vgprG2LB+60+0+2:vgprG2LB+60+0+2+1], v[246:247], v[16:23]
 // Cr += -Ai*Bi
_buffer_load_b128 v[vgprG2LB1+16:vgprG2LB1+16+3], v[vgprGlobalReadOffsetB+4], s[sgprSrdB:sgprSrdB+3], 0, offen offset:0 // G -> Reg 0_0_4_0
/*  mfmaIndex:151  */
_ds_load_b128 v[vgprValuA_X0_I0+4:vgprValuA_X0_I0+4+3], v[vgprLocalReadAddrA] offset:256 // L -> Reg lro=0 swapByteOffset=0 ti=16 vIdx=1 rIdx=0 oIdx=0 buffer=0 iui=0
v_mfma_f64_16x16x4_f64 v[56+0:63+0], v[vgprG2LB+60+0+2:vgprG2LB+60+0+2+1], v[vgprValuA_X1_I0+8+0+0:vgprValuA_X1_I0+8+0+0+1], v[56:63]
 // Ci += Ar*Bi
/*  mfmaIndex:152  */
_ds_load_b128 v[vgprValuA_X0_I0+8:vgprValuA_X0_I0+8+3], v[vgprLocalReadAddrA] offset:512 // L -> Reg lro=0 swapByteOffset=0 ti=16 vIdx=2 rIdx=0 oIdx=0 buffer=0 iui=0
v_add_f64 v[246:247], -v[vgprValuA_X1_I0+12+0+0+2:vgprValuA_X1_I0+12+0+0+2+1], 0 // Ai=-Ai
v_mfma_f64_16x16x4_f64 v[24+0:31+0], v[vgprG2LB+60+0:vgprG2LB+60+0+1], v[vgprValuA_X1_I0+12+0+0:vgprValuA_X1_I0+12+0+0+1], v[24:31]
 // Cr += Ar*Br
/*  mfmaIndex:153  */
_ds_load_b128 v[vgprValuA_X0_I0+12:vgprValuA_X0_I0+12+3], v[vgprLocalReadAddrA] offset:768 // L -> Reg lro=0 swapByteOffset=0 ti=16 vIdx=3 rIdx=0 oIdx=0 buffer=0 iui=0
v_mfma_f64_16x16x4_f64 v[64+0:71+0], v[vgprG2LB+60+0:vgprG2LB+60+0+1], v[vgprValuA_X1_I0+12+0+0+2:vgprValuA_X1_I0+12+0+0+2+1], v[64:71]
 // Ci += Ai*Br
_buffer_load_b128 v[vgprG2LB1+20:vgprG2LB1+20+3], v[vgprGlobalReadOffsetB+5], s[sgprSrdB:sgprSrdB+3], 0, offen offset:0 // G -> Reg 0_0_5_0
/*  mfmaIndex:154  */
_ds_load_b128 v[vgprValuA_X0_I0+16:vgprValuA_X0_I0+16+3], v[vgprLocalReadAddrA] offset:1024 // L -> Reg lro=0 swapByteOffset=0 ti=16 vIdx=4 rIdx=0 oIdx=0 buffer=0 iui=0
v_mfma_f64_16x16x4_f64 v[24+0:31+0], v[vgprG2LB+60+0+2:vgprG2LB+60+0+2+1], v[246:247], v[24:31]
 // Cr += -Ai*Bi
/*  mfmaIndex:155  */
v_mfma_f64_16x16x4_f64 v[64+0:71+0], v[vgprG2LB+60+0+2:vgprG2LB+60+0+2+1], v[vgprValuA_X1_I0+12+0+0:vgprValuA_X1_I0+12+0+0+1], v[64:71]
 // Ci += Ar*Bi
/*  mfmaIndex:156  */
v_add_f64 v[246:247], -v[vgprValuA_X1_I0+16+0+0+2:vgprValuA_X1_I0+16+0+0+2+1], 0 // Ai=-Ai
v_mfma_f64_16x16x4_f64 v[32+0:39+0], v[vgprG2LB+60+0:vgprG2LB+60+0+1], v[vgprValuA_X1_I0+16+0+0:vgprValuA_X1_I0+16+0+0+1], v[32:39]
 // Cr += Ar*Br
_buffer_load_b128 v[vgprG2LB1+24:vgprG2LB1+24+3], v[vgprGlobalReadOffsetB+6], s[sgprSrdB:sgprSrdB+3], 0, offen offset:0 // G -> Reg 0_0_6_0
/*  mfmaIndex:157  */
v_mfma_f64_16x16x4_f64 v[72+0:79+0], v[vgprG2LB+60+0:vgprG2LB+60+0+1], v[vgprValuA_X1_I0+16+0+0+2:vgprValuA_X1_I0+16+0+0+2+1], v[72:79]
 // Ci += Ai*Br
/*  mfmaIndex:158  */
v_mfma_f64_16x16x4_f64 v[32+0:39+0], v[vgprG2LB+60+0+2:vgprG2LB+60+0+2+1], v[246:247], v[32:39]
 // Cr += -Ai*Bi
/*  mfmaIndex:159  */
v_mfma_f64_16x16x4_f64 v[72+0:79+0], v[vgprG2LB+60+0+2:vgprG2LB+60+0+2+1], v[vgprValuA_X1_I0+16+0+0:vgprValuA_X1_I0+16+0+0+1], v[72:79]
 // Ci += Ar*Bi
_buffer_load_b128 v[vgprG2LB1+28:vgprG2LB1+28+3], v[vgprGlobalReadOffsetB+7], s[sgprSrdB:sgprSrdB+3], 0, offen offset:0 // G -> Reg 0_0_7_0
/* numPrefetchIter=1 */
/* dataAtIterA=6 numReadsIterA=7 skipReadsIterA=1 readsPerIterA=5 */
/* dataAtIterB=6 numReadsIterB=7 skipReadsIterB=1 readsPerIterB=1 */


/******************************************/
/* Unrolled Loop - End 2/2 (final)        */
/******************************************/


/* closeLoop loopL finalLoop=1 tailLoop=0 */
s_sub_u32 s[sgprLoopCounterL], s[sgprLoopCounterL], 1 // dec counterL
s_cmp_eq_i32 s[sgprLoopCounterL], 0x2              // counterL==2
s_cbranch_scc0 LoopBeginL_1                        // restart LoopL
LoopEndL_evenexit_4: // unroll loop eveniter exit
s_branch LoopEndL_2                                // exit unroll loopL (and skip second exit code)
LoopEndL_oddexit_3: // unroll loop odditer exit

/* Select high bank of LDS */
LoopEndL_2:


/* Before NLL: Check VGPR.checkin for INT8 LW */


/******************************************/
/* Ord. NoGlobalLoadLoop - Begin                                      */
/******************************************/


s_and_b32 s31, s[sgprOrigLoopCounter], 1           // test if OrigLoopCounter is Odd ?
s_cbranch_scc0 label_0017                          // Skip odd code if OrigLoopCounter is Even


/* iter 0 */

s_waitcnt vmcnt(25)                                // lgkmcnt=-1 vmcnt=25global read wait for DirectToVgpr

/*  grEndMfmaIndex:4, lwStartMfmaIndex:131, lwEndMfmaIndex:139  */
/*  numMfmaForLR:10, barrierMfmaIndex:149, LocalWritePerMfma:1.060 */
/*  mfmaIndex:0  */
s_waitcnt lgkmcnt(0)                               // lgkmcnt=0 vmcnt=-1wait for prior local read local write old=0, new=0 newLW=0 newLR=0
v_add_f64 v[246:247], -v[vgprValuA_X0_I0+0+0+0+2:vgprValuA_X0_I0+0+0+0+2+1], 0 // Ai=-Ai
v_mfma_f64_16x16x4_f64 v[0+0:7+0], v[vgprG2LB+32+0:vgprG2LB+32+0+1], v[vgprValuA_X0_I0+0+0+0:vgprValuA_X0_I0+0+0+0+1], v[0:7]
 // Cr += Ar*Br
/*  mfmaIndex:1  */
_ds_load_b128 v[vgprValuA_X1_I0+0:vgprValuA_X1_I0+0+3], v[vgprLocalReadAddrA] offset:5120 // L -> Reg lro=320 swapByteOffset=0 ti=16 vIdx=0 rIdx=0 oIdx=0 buffer=1 iui=0

/* global read inc A loopL */
s_add_u32 s[sgprSrdA+0], s[sgprSrdA+0], s[sgprGlobalReadIncsA+0] // gra SRD += inc(lower)
s_addc_u32  s[sgprSrdA+1], s[sgprSrdA+1], 0        // gra SRD += inc(upper)
s_sub_u32 s[sgprShadowLimitA+0], s[sgprShadowLimitA+0], s[sgprGlobalReadIncsA+0] // limit -= inc)
v_mfma_f64_16x16x4_f64 v[40+0:47+0], v[vgprG2LB+32+0:vgprG2LB+32+0+1], v[vgprValuA_X0_I0+0+0+0+2:vgprValuA_X0_I0+0+0+0+2+1], v[40:47]
 // Ci += Ai*Br
/*  mfmaIndex:2  */
_ds_load_b128 v[vgprValuA_X1_I0+4:vgprValuA_X1_I0+4+3], v[vgprLocalReadAddrA] offset:5376 // L -> Reg lro=320 swapByteOffset=0 ti=16 vIdx=1 rIdx=0 oIdx=0 buffer=1 iui=0
s_subb_u32 s[sgprShadowLimitA+1], s[sgprShadowLimitA+1], 0 // limit -= inc)
s_cmp_eq_u32 s[sgprShadowLimitA+1], 0              // are we within 2^32?
s_cmov_b32 s[sgprSrdA+2], s[sgprShadowLimitA+0]    // Move shadow to real if we are within 2^32
v_mfma_f64_16x16x4_f64 v[0+0:7+0], v[vgprG2LB+32+0+2:vgprG2LB+32+0+2+1], v[246:247], v[0:7]
 // Cr += -Ai*Bi
/*  mfmaIndex:3  */
_ds_load_b128 v[vgprValuA_X1_I0+8:vgprValuA_X1_I0+8+3], v[vgprLocalReadAddrA] offset:5632 // L -> Reg lro=320 swapByteOffset=0 ti=16 vIdx=2 rIdx=0 oIdx=0 buffer=1 iui=0

/* global read inc B loopL */
s_add_u32 s[sgprSrdB+0], s[sgprSrdB+0], s[sgprGlobalReadIncsB+0] // gra SRD += inc(lower)
s_addc_u32  s[sgprSrdB+1], s[sgprSrdB+1], 0        // gra SRD += inc(upper)
s_sub_u32 s[sgprShadowLimitB+0], s[sgprShadowLimitB+0], s[sgprGlobalReadIncsB+0] // limit -= inc)
v_mfma_f64_16x16x4_f64 v[40+0:47+0], v[vgprG2LB+32+0+2:vgprG2LB+32+0+2+1], v[vgprValuA_X0_I0+0+0+0:vgprValuA_X0_I0+0+0+0+1], v[40:47]
 // Ci += Ar*Bi
/*  mfmaIndex:4  */
_ds_load_b128 v[vgprValuA_X1_I0+12:vgprValuA_X1_I0+12+3], v[vgprLocalReadAddrA] offset:5888 // L -> Reg lro=320 swapByteOffset=0 ti=16 vIdx=3 rIdx=0 oIdx=0 buffer=1 iui=0
s_subb_u32 s[sgprShadowLimitB+1], s[sgprShadowLimitB+1], 0 // limit -= inc)
s_cmp_eq_u32 s[sgprShadowLimitB+1], 0              // are we within 2^32?
s_cmov_b32 s[sgprSrdB+2], s[sgprShadowLimitB+0]    // Move shadow to real if we are within 2^32
v_add_f64 v[246:247], -v[vgprValuA_X0_I0+4+0+0+2:vgprValuA_X0_I0+4+0+0+2+1], 0 // Ai=-Ai
v_mfma_f64_16x16x4_f64 v[8+0:15+0], v[vgprG2LB+32+0:vgprG2LB+32+0+1], v[vgprValuA_X0_I0+4+0+0:vgprValuA_X0_I0+4+0+0+1], v[8:15]
 // Cr += Ar*Br
/*  mfmaIndex:5  */
_ds_load_b128 v[vgprValuA_X1_I0+16:vgprValuA_X1_I0+16+3], v[vgprLocalReadAddrA] offset:6144 // L -> Reg lro=320 swapByteOffset=0 ti=16 vIdx=4 rIdx=0 oIdx=0 buffer=1 iui=0
/* localReadsVacancy: latencyLeft 1 */
v_mfma_f64_16x16x4_f64 v[48+0:55+0], v[vgprG2LB+32+0:vgprG2LB+32+0+1], v[vgprValuA_X0_I0+4+0+0+2:vgprValuA_X0_I0+4+0+0+2+1], v[48:55]
 // Ci += Ai*Br
/*  mfmaIndex:6  */
/* localReadsVacancy: latencyLeft 5 */
v_mfma_f64_16x16x4_f64 v[8+0:15+0], v[vgprG2LB+32+0+2:vgprG2LB+32+0+2+1], v[246:247], v[8:15]
 // Cr += -Ai*Bi
/*  mfmaIndex:7  */
/* localReadsVacancy: latencyLeft 5 */
v_mfma_f64_16x16x4_f64 v[48+0:55+0], v[vgprG2LB+32+0+2:vgprG2LB+32+0+2+1], v[vgprValuA_X0_I0+4+0+0:vgprValuA_X0_I0+4+0+0+1], v[48:55]
 // Ci += Ar*Bi
/*  mfmaIndex:8  */
/* localReadsVacancy: latencyLeft 5 */
v_add_f64 v[246:247], -v[vgprValuA_X0_I0+8+0+0+2:vgprValuA_X0_I0+8+0+0+2+1], 0 // Ai=-Ai
v_mfma_f64_16x16x4_f64 v[16+0:23+0], v[vgprG2LB+32+0:vgprG2LB+32+0+1], v[vgprValuA_X0_I0+8+0+0:vgprValuA_X0_I0+8+0+0+1], v[16:23]
 // Cr += Ar*Br
/*  mfmaIndex:9  */
/* localReadsVacancy: latencyLeft 5 */
v_mfma_f64_16x16x4_f64 v[56+0:63+0], v[vgprG2LB+32+0:vgprG2LB+32+0+1], v[vgprValuA_X0_I0+8+0+0+2:vgprValuA_X0_I0+8+0+0+2+1], v[56:63]
 // Ci += Ai*Br
/*  mfmaIndex:10  */
/* localReadsVacancy: latencyLeft 5 */
v_mfma_f64_16x16x4_f64 v[16+0:23+0], v[vgprG2LB+32+0+2:vgprG2LB+32+0+2+1], v[246:247], v[16:23]
 // Cr += -Ai*Bi
/*  mfmaIndex:11  */
/* localReadsVacancy: latencyLeft 5 */
v_mfma_f64_16x16x4_f64 v[56+0:63+0], v[vgprG2LB+32+0+2:vgprG2LB+32+0+2+1], v[vgprValuA_X0_I0+8+0+0:vgprValuA_X0_I0+8+0+0+1], v[56:63]
 // Ci += Ar*Bi
/*  mfmaIndex:12  */
/* localReadsVacancy: latencyLeft 5 */
v_add_f64 v[246:247], -v[vgprValuA_X0_I0+12+0+0+2:vgprValuA_X0_I0+12+0+0+2+1], 0 // Ai=-Ai
v_mfma_f64_16x16x4_f64 v[24+0:31+0], v[vgprG2LB+32+0:vgprG2LB+32+0+1], v[vgprValuA_X0_I0+12+0+0:vgprValuA_X0_I0+12+0+0+1], v[24:31]
 // Cr += Ar*Br
/*  mfmaIndex:13  */
	;; [unrolled: 17-line block ×3, first 2 shown]
/* localReadsVacancy: latencyLeft 5 */
v_mfma_f64_16x16x4_f64 v[72+0:79+0], v[vgprG2LB+32+0:vgprG2LB+32+0+1], v[vgprValuA_X0_I0+16+0+0+2:vgprValuA_X0_I0+16+0+0+2+1], v[72:79]
 // Ci += Ai*Br
/*  mfmaIndex:18  */
/* localReadsVacancy: latencyLeft 5 */
v_mfma_f64_16x16x4_f64 v[32+0:39+0], v[vgprG2LB+32+0+2:vgprG2LB+32+0+2+1], v[246:247], v[32:39]
 // Cr += -Ai*Bi
/*  mfmaIndex:19  */
/* localReadsVacancy: latencyLeft 5 */
v_mfma_f64_16x16x4_f64 v[72+0:79+0], v[vgprG2LB+32+0+2:vgprG2LB+32+0+2+1], v[vgprValuA_X0_I0+16+0+0:vgprValuA_X0_I0+16+0+0+1], v[72:79]
 // Ci += Ar*Bi
/* numPrefetchIter=0 */
/* dataAtIterA=-1 numReadsIterA=1 skipReadsIterA=1 readsPerIterA=5 */
/* dataAtIterB=-1 numReadsIterB=1 skipReadsIterB=1 readsPerIterB=1 */


/* iter 1 */

s_waitcnt vmcnt(24)                                // lgkmcnt=-1 vmcnt=24global read wait for DirectToVgpr

/*  grEndMfmaIndex:4, lwStartMfmaIndex:131, lwEndMfmaIndex:139  */
/*  numMfmaForLR:10, barrierMfmaIndex:149, LocalWritePerMfma:1.060 */
/*  mfmaIndex:20  */
_ds_load_b128 v[vgprValuA_X0_I0+0:vgprValuA_X0_I0+0+3], v[vgprLocalReadAddrA] offset:10240 // L -> Reg lro=640 swapByteOffset=0 ti=16 vIdx=0 rIdx=0 oIdx=0 buffer=0 iui=0
s_waitcnt lgkmcnt(1)                               // lgkmcnt=0 vmcnt=-1wait for prior local read local write old=0, new=1 newLW=0 newLR=1
v_add_f64 v[246:247], -v[vgprValuA_X1_I0+0+0+0+2:vgprValuA_X1_I0+0+0+0+2+1], 0 // Ai=-Ai
v_mfma_f64_16x16x4_f64 v[0+0:7+0], v[vgprG2LB+36+0:vgprG2LB+36+0+1], v[vgprValuA_X1_I0+0+0+0:vgprValuA_X1_I0+0+0+0+1], v[0:7]
 // Cr += Ar*Br
/*  mfmaIndex:21  */
_ds_load_b128 v[vgprValuA_X0_I0+4:vgprValuA_X0_I0+4+3], v[vgprLocalReadAddrA] offset:10496 // L -> Reg lro=640 swapByteOffset=0 ti=16 vIdx=1 rIdx=0 oIdx=0 buffer=0 iui=0
v_mfma_f64_16x16x4_f64 v[40+0:47+0], v[vgprG2LB+36+0:vgprG2LB+36+0+1], v[vgprValuA_X1_I0+0+0+0+2:vgprValuA_X1_I0+0+0+0+2+1], v[40:47]
 // Ci += Ai*Br
/*  mfmaIndex:22  */
_ds_load_b128 v[vgprValuA_X0_I0+8:vgprValuA_X0_I0+8+3], v[vgprLocalReadAddrA] offset:10752 // L -> Reg lro=640 swapByteOffset=0 ti=16 vIdx=2 rIdx=0 oIdx=0 buffer=0 iui=0
v_mfma_f64_16x16x4_f64 v[0+0:7+0], v[vgprG2LB+36+0+2:vgprG2LB+36+0+2+1], v[246:247], v[0:7]
 // Cr += -Ai*Bi
/*  mfmaIndex:23  */
_ds_load_b128 v[vgprValuA_X0_I0+12:vgprValuA_X0_I0+12+3], v[vgprLocalReadAddrA] offset:11008 // L -> Reg lro=640 swapByteOffset=0 ti=16 vIdx=3 rIdx=0 oIdx=0 buffer=0 iui=0
v_mfma_f64_16x16x4_f64 v[40+0:47+0], v[vgprG2LB+36+0+2:vgprG2LB+36+0+2+1], v[vgprValuA_X1_I0+0+0+0:vgprValuA_X1_I0+0+0+0+1], v[40:47]
 // Ci += Ar*Bi
/*  mfmaIndex:24  */
_ds_load_b128 v[vgprValuA_X0_I0+16:vgprValuA_X0_I0+16+3], v[vgprLocalReadAddrA] offset:11264 // L -> Reg lro=640 swapByteOffset=0 ti=16 vIdx=4 rIdx=0 oIdx=0 buffer=0 iui=0
/* localReadsVacancy: latencyLeft 1 */
v_add_f64 v[246:247], -v[vgprValuA_X1_I0+4+0+0+2:vgprValuA_X1_I0+4+0+0+2+1], 0 // Ai=-Ai
v_mfma_f64_16x16x4_f64 v[8+0:15+0], v[vgprG2LB+36+0:vgprG2LB+36+0+1], v[vgprValuA_X1_I0+4+0+0:vgprValuA_X1_I0+4+0+0+1], v[8:15]
 // Cr += Ar*Br
/*  mfmaIndex:25  */
/* localReadsVacancy: latencyLeft 5 */
v_mfma_f64_16x16x4_f64 v[48+0:55+0], v[vgprG2LB+36+0:vgprG2LB+36+0+1], v[vgprValuA_X1_I0+4+0+0+2:vgprValuA_X1_I0+4+0+0+2+1], v[48:55]
 // Ci += Ai*Br
/*  mfmaIndex:26  */
/* localReadsVacancy: latencyLeft 5 */
v_mfma_f64_16x16x4_f64 v[8+0:15+0], v[vgprG2LB+36+0+2:vgprG2LB+36+0+2+1], v[246:247], v[8:15]
 // Cr += -Ai*Bi
/*  mfmaIndex:27  */
/* localReadsVacancy: latencyLeft 5 */
v_mfma_f64_16x16x4_f64 v[48+0:55+0], v[vgprG2LB+36+0+2:vgprG2LB+36+0+2+1], v[vgprValuA_X1_I0+4+0+0:vgprValuA_X1_I0+4+0+0+1], v[48:55]
 // Ci += Ar*Bi
/*  mfmaIndex:28  */
/* localReadsVacancy: latencyLeft 5 */
v_add_f64 v[246:247], -v[vgprValuA_X1_I0+8+0+0+2:vgprValuA_X1_I0+8+0+0+2+1], 0 // Ai=-Ai
v_mfma_f64_16x16x4_f64 v[16+0:23+0], v[vgprG2LB+36+0:vgprG2LB+36+0+1], v[vgprValuA_X1_I0+8+0+0:vgprValuA_X1_I0+8+0+0+1], v[16:23]
 // Cr += Ar*Br
/*  mfmaIndex:29  */
/* localReadsVacancy: latencyLeft 5 */
v_mfma_f64_16x16x4_f64 v[56+0:63+0], v[vgprG2LB+36+0:vgprG2LB+36+0+1], v[vgprValuA_X1_I0+8+0+0+2:vgprValuA_X1_I0+8+0+0+2+1], v[56:63]
 // Ci += Ai*Br
/*  mfmaIndex:30  */
/* localReadsVacancy: latencyLeft 5 */
v_mfma_f64_16x16x4_f64 v[16+0:23+0], v[vgprG2LB+36+0+2:vgprG2LB+36+0+2+1], v[246:247], v[16:23]
 // Cr += -Ai*Bi
/*  mfmaIndex:31  */
/* localReadsVacancy: latencyLeft 5 */
v_mfma_f64_16x16x4_f64 v[56+0:63+0], v[vgprG2LB+36+0+2:vgprG2LB+36+0+2+1], v[vgprValuA_X1_I0+8+0+0:vgprValuA_X1_I0+8+0+0+1], v[56:63]
 // Ci += Ar*Bi
/*  mfmaIndex:32  */
	;; [unrolled: 17-line block ×3, first 2 shown]
/* localReadsVacancy: latencyLeft 5 */
v_add_f64 v[246:247], -v[vgprValuA_X1_I0+16+0+0+2:vgprValuA_X1_I0+16+0+0+2+1], 0 // Ai=-Ai
v_mfma_f64_16x16x4_f64 v[32+0:39+0], v[vgprG2LB+36+0:vgprG2LB+36+0+1], v[vgprValuA_X1_I0+16+0+0:vgprValuA_X1_I0+16+0+0+1], v[32:39]
 // Cr += Ar*Br
/*  mfmaIndex:37  */
/* localReadsVacancy: latencyLeft 5 */
v_mfma_f64_16x16x4_f64 v[72+0:79+0], v[vgprG2LB+36+0:vgprG2LB+36+0+1], v[vgprValuA_X1_I0+16+0+0+2:vgprValuA_X1_I0+16+0+0+2+1], v[72:79]
 // Ci += Ai*Br
/*  mfmaIndex:38  */
/* localReadsVacancy: latencyLeft 5 */
v_mfma_f64_16x16x4_f64 v[32+0:39+0], v[vgprG2LB+36+0+2:vgprG2LB+36+0+2+1], v[246:247], v[32:39]
 // Cr += -Ai*Bi
/*  mfmaIndex:39  */
/* localReadsVacancy: latencyLeft 5 */
v_mfma_f64_16x16x4_f64 v[72+0:79+0], v[vgprG2LB+36+0+2:vgprG2LB+36+0+2+1], v[vgprValuA_X1_I0+16+0+0:vgprValuA_X1_I0+16+0+0+1], v[72:79]
 // Ci += Ar*Bi
/* numPrefetchIter=0 */
/* dataAtIterA=0 numReadsIterA=2 skipReadsIterA=1 readsPerIterA=5 */
/* dataAtIterB=0 numReadsIterB=2 skipReadsIterB=1 readsPerIterB=1 */


/* iter 2 */

s_waitcnt vmcnt(23)                                // lgkmcnt=-1 vmcnt=23global read wait for DirectToVgpr

/*  grEndMfmaIndex:4, lwStartMfmaIndex:131, lwEndMfmaIndex:139  */
/*  numMfmaForLR:10, barrierMfmaIndex:149, LocalWritePerMfma:1.060 */
/*  mfmaIndex:40  */
_ds_load_b128 v[vgprValuA_X1_I0+0:vgprValuA_X1_I0+0+3], v[vgprLocalReadAddrA] offset:15360 // L -> Reg lro=960 swapByteOffset=0 ti=16 vIdx=0 rIdx=0 oIdx=0 buffer=1 iui=0
s_waitcnt lgkmcnt(1)                               // lgkmcnt=0 vmcnt=-1wait for prior local read local write old=0, new=1 newLW=0 newLR=1
v_add_f64 v[246:247], -v[vgprValuA_X0_I0+0+0+0+2:vgprValuA_X0_I0+0+0+0+2+1], 0 // Ai=-Ai
v_mfma_f64_16x16x4_f64 v[0+0:7+0], v[vgprG2LB+40+0:vgprG2LB+40+0+1], v[vgprValuA_X0_I0+0+0+0:vgprValuA_X0_I0+0+0+0+1], v[0:7]
 // Cr += Ar*Br
/*  mfmaIndex:41  */
_ds_load_b128 v[vgprValuA_X1_I0+4:vgprValuA_X1_I0+4+3], v[vgprLocalReadAddrA] offset:15616 // L -> Reg lro=960 swapByteOffset=0 ti=16 vIdx=1 rIdx=0 oIdx=0 buffer=1 iui=0
v_mfma_f64_16x16x4_f64 v[40+0:47+0], v[vgprG2LB+40+0:vgprG2LB+40+0+1], v[vgprValuA_X0_I0+0+0+0+2:vgprValuA_X0_I0+0+0+0+2+1], v[40:47]
 // Ci += Ai*Br
/*  mfmaIndex:42  */
_ds_load_b128 v[vgprValuA_X1_I0+8:vgprValuA_X1_I0+8+3], v[vgprLocalReadAddrA] offset:15872 // L -> Reg lro=960 swapByteOffset=0 ti=16 vIdx=2 rIdx=0 oIdx=0 buffer=1 iui=0
v_mfma_f64_16x16x4_f64 v[0+0:7+0], v[vgprG2LB+40+0+2:vgprG2LB+40+0+2+1], v[246:247], v[0:7]
 // Cr += -Ai*Bi
/*  mfmaIndex:43  */
_ds_load_b128 v[vgprValuA_X1_I0+12:vgprValuA_X1_I0+12+3], v[vgprLocalReadAddrA] offset:16128 // L -> Reg lro=960 swapByteOffset=0 ti=16 vIdx=3 rIdx=0 oIdx=0 buffer=1 iui=0
v_mfma_f64_16x16x4_f64 v[40+0:47+0], v[vgprG2LB+40+0+2:vgprG2LB+40+0+2+1], v[vgprValuA_X0_I0+0+0+0:vgprValuA_X0_I0+0+0+0+1], v[40:47]
 // Ci += Ar*Bi
/*  mfmaIndex:44  */
_ds_load_b128 v[vgprValuA_X1_I0+16:vgprValuA_X1_I0+16+3], v[vgprLocalReadAddrA] offset:16384 // L -> Reg lro=960 swapByteOffset=0 ti=16 vIdx=4 rIdx=0 oIdx=0 buffer=1 iui=0
/* localReadsVacancy: latencyLeft 1 */
v_add_f64 v[246:247], -v[vgprValuA_X0_I0+4+0+0+2:vgprValuA_X0_I0+4+0+0+2+1], 0 // Ai=-Ai
v_mfma_f64_16x16x4_f64 v[8+0:15+0], v[vgprG2LB+40+0:vgprG2LB+40+0+1], v[vgprValuA_X0_I0+4+0+0:vgprValuA_X0_I0+4+0+0+1], v[8:15]
 // Cr += Ar*Br
/*  mfmaIndex:45  */
/* localReadsVacancy: latencyLeft 5 */
v_mfma_f64_16x16x4_f64 v[48+0:55+0], v[vgprG2LB+40+0:vgprG2LB+40+0+1], v[vgprValuA_X0_I0+4+0+0+2:vgprValuA_X0_I0+4+0+0+2+1], v[48:55]
 // Ci += Ai*Br
/*  mfmaIndex:46  */
/* localReadsVacancy: latencyLeft 5 */
v_mfma_f64_16x16x4_f64 v[8+0:15+0], v[vgprG2LB+40+0+2:vgprG2LB+40+0+2+1], v[246:247], v[8:15]
 // Cr += -Ai*Bi
/*  mfmaIndex:47  */
/* localReadsVacancy: latencyLeft 5 */
v_mfma_f64_16x16x4_f64 v[48+0:55+0], v[vgprG2LB+40+0+2:vgprG2LB+40+0+2+1], v[vgprValuA_X0_I0+4+0+0:vgprValuA_X0_I0+4+0+0+1], v[48:55]
 // Ci += Ar*Bi
/*  mfmaIndex:48  */
/* localReadsVacancy: latencyLeft 5 */
v_add_f64 v[246:247], -v[vgprValuA_X0_I0+8+0+0+2:vgprValuA_X0_I0+8+0+0+2+1], 0 // Ai=-Ai
v_mfma_f64_16x16x4_f64 v[16+0:23+0], v[vgprG2LB+40+0:vgprG2LB+40+0+1], v[vgprValuA_X0_I0+8+0+0:vgprValuA_X0_I0+8+0+0+1], v[16:23]
 // Cr += Ar*Br
/*  mfmaIndex:49  */
/* localReadsVacancy: latencyLeft 5 */
v_mfma_f64_16x16x4_f64 v[56+0:63+0], v[vgprG2LB+40+0:vgprG2LB+40+0+1], v[vgprValuA_X0_I0+8+0+0+2:vgprValuA_X0_I0+8+0+0+2+1], v[56:63]
 // Ci += Ai*Br
/*  mfmaIndex:50  */
/* localReadsVacancy: latencyLeft 5 */
v_mfma_f64_16x16x4_f64 v[16+0:23+0], v[vgprG2LB+40+0+2:vgprG2LB+40+0+2+1], v[246:247], v[16:23]
 // Cr += -Ai*Bi
/*  mfmaIndex:51  */
/* localReadsVacancy: latencyLeft 5 */
v_mfma_f64_16x16x4_f64 v[56+0:63+0], v[vgprG2LB+40+0+2:vgprG2LB+40+0+2+1], v[vgprValuA_X0_I0+8+0+0:vgprValuA_X0_I0+8+0+0+1], v[56:63]
 // Ci += Ar*Bi
/*  mfmaIndex:52  */
	;; [unrolled: 17-line block ×3, first 2 shown]
/* localReadsVacancy: latencyLeft 5 */
v_add_f64 v[246:247], -v[vgprValuA_X0_I0+16+0+0+2:vgprValuA_X0_I0+16+0+0+2+1], 0 // Ai=-Ai
v_mfma_f64_16x16x4_f64 v[32+0:39+0], v[vgprG2LB+40+0:vgprG2LB+40+0+1], v[vgprValuA_X0_I0+16+0+0:vgprValuA_X0_I0+16+0+0+1], v[32:39]
 // Cr += Ar*Br
/*  mfmaIndex:57  */
/* localReadsVacancy: latencyLeft 5 */
v_mfma_f64_16x16x4_f64 v[72+0:79+0], v[vgprG2LB+40+0:vgprG2LB+40+0+1], v[vgprValuA_X0_I0+16+0+0+2:vgprValuA_X0_I0+16+0+0+2+1], v[72:79]
 // Ci += Ai*Br
/*  mfmaIndex:58  */
/* localReadsVacancy: latencyLeft 5 */
v_mfma_f64_16x16x4_f64 v[32+0:39+0], v[vgprG2LB+40+0+2:vgprG2LB+40+0+2+1], v[246:247], v[32:39]
 // Cr += -Ai*Bi
/*  mfmaIndex:59  */
/* localReadsVacancy: latencyLeft 5 */
v_mfma_f64_16x16x4_f64 v[72+0:79+0], v[vgprG2LB+40+0+2:vgprG2LB+40+0+2+1], v[vgprValuA_X0_I0+16+0+0:vgprValuA_X0_I0+16+0+0+1], v[72:79]
 // Ci += Ar*Bi
/* numPrefetchIter=0 */
/* dataAtIterA=1 numReadsIterA=3 skipReadsIterA=1 readsPerIterA=5 */
/* dataAtIterB=1 numReadsIterB=3 skipReadsIterB=1 readsPerIterB=1 */


/* iter 3 */

s_waitcnt vmcnt(22)                                // lgkmcnt=-1 vmcnt=22global read wait for DirectToVgpr

/*  grEndMfmaIndex:4, lwStartMfmaIndex:131, lwEndMfmaIndex:139  */
/*  numMfmaForLR:10, barrierMfmaIndex:149, LocalWritePerMfma:1.060 */
/*  mfmaIndex:60  */
_ds_load_b128 v[vgprValuA_X0_I0+0:vgprValuA_X0_I0+0+3], v[vgprLocalReadAddrA] offset:20480 // L -> Reg lro=1280 swapByteOffset=0 ti=16 vIdx=0 rIdx=0 oIdx=0 buffer=0 iui=0
s_waitcnt lgkmcnt(1)                               // lgkmcnt=0 vmcnt=-1wait for prior local read local write old=0, new=1 newLW=0 newLR=1
v_add_f64 v[246:247], -v[vgprValuA_X1_I0+0+0+0+2:vgprValuA_X1_I0+0+0+0+2+1], 0 // Ai=-Ai
v_mfma_f64_16x16x4_f64 v[0+0:7+0], v[vgprG2LB+44+0:vgprG2LB+44+0+1], v[vgprValuA_X1_I0+0+0+0:vgprValuA_X1_I0+0+0+0+1], v[0:7]
 // Cr += Ar*Br
/*  mfmaIndex:61  */
_ds_load_b128 v[vgprValuA_X0_I0+4:vgprValuA_X0_I0+4+3], v[vgprLocalReadAddrA] offset:20736 // L -> Reg lro=1280 swapByteOffset=0 ti=16 vIdx=1 rIdx=0 oIdx=0 buffer=0 iui=0
v_mfma_f64_16x16x4_f64 v[40+0:47+0], v[vgprG2LB+44+0:vgprG2LB+44+0+1], v[vgprValuA_X1_I0+0+0+0+2:vgprValuA_X1_I0+0+0+0+2+1], v[40:47]
 // Ci += Ai*Br
/*  mfmaIndex:62  */
_ds_load_b128 v[vgprValuA_X0_I0+8:vgprValuA_X0_I0+8+3], v[vgprLocalReadAddrA] offset:20992 // L -> Reg lro=1280 swapByteOffset=0 ti=16 vIdx=2 rIdx=0 oIdx=0 buffer=0 iui=0
v_mfma_f64_16x16x4_f64 v[0+0:7+0], v[vgprG2LB+44+0+2:vgprG2LB+44+0+2+1], v[246:247], v[0:7]
 // Cr += -Ai*Bi
/*  mfmaIndex:63  */
_ds_load_b128 v[vgprValuA_X0_I0+12:vgprValuA_X0_I0+12+3], v[vgprLocalReadAddrA] offset:21248 // L -> Reg lro=1280 swapByteOffset=0 ti=16 vIdx=3 rIdx=0 oIdx=0 buffer=0 iui=0
v_mfma_f64_16x16x4_f64 v[40+0:47+0], v[vgprG2LB+44+0+2:vgprG2LB+44+0+2+1], v[vgprValuA_X1_I0+0+0+0:vgprValuA_X1_I0+0+0+0+1], v[40:47]
 // Ci += Ar*Bi
/*  mfmaIndex:64  */
_ds_load_b128 v[vgprValuA_X0_I0+16:vgprValuA_X0_I0+16+3], v[vgprLocalReadAddrA] offset:21504 // L -> Reg lro=1280 swapByteOffset=0 ti=16 vIdx=4 rIdx=0 oIdx=0 buffer=0 iui=0
/* localReadsVacancy: latencyLeft 1 */
v_add_f64 v[246:247], -v[vgprValuA_X1_I0+4+0+0+2:vgprValuA_X1_I0+4+0+0+2+1], 0 // Ai=-Ai
v_mfma_f64_16x16x4_f64 v[8+0:15+0], v[vgprG2LB+44+0:vgprG2LB+44+0+1], v[vgprValuA_X1_I0+4+0+0:vgprValuA_X1_I0+4+0+0+1], v[8:15]
 // Cr += Ar*Br
/*  mfmaIndex:65  */
/* localReadsVacancy: latencyLeft 5 */
v_mfma_f64_16x16x4_f64 v[48+0:55+0], v[vgprG2LB+44+0:vgprG2LB+44+0+1], v[vgprValuA_X1_I0+4+0+0+2:vgprValuA_X1_I0+4+0+0+2+1], v[48:55]
 // Ci += Ai*Br
/*  mfmaIndex:66  */
/* localReadsVacancy: latencyLeft 5 */
v_mfma_f64_16x16x4_f64 v[8+0:15+0], v[vgprG2LB+44+0+2:vgprG2LB+44+0+2+1], v[246:247], v[8:15]
 // Cr += -Ai*Bi
/*  mfmaIndex:67  */
/* localReadsVacancy: latencyLeft 5 */
v_mfma_f64_16x16x4_f64 v[48+0:55+0], v[vgprG2LB+44+0+2:vgprG2LB+44+0+2+1], v[vgprValuA_X1_I0+4+0+0:vgprValuA_X1_I0+4+0+0+1], v[48:55]
 // Ci += Ar*Bi
/*  mfmaIndex:68  */
/* localReadsVacancy: latencyLeft 5 */
v_add_f64 v[246:247], -v[vgprValuA_X1_I0+8+0+0+2:vgprValuA_X1_I0+8+0+0+2+1], 0 // Ai=-Ai
v_mfma_f64_16x16x4_f64 v[16+0:23+0], v[vgprG2LB+44+0:vgprG2LB+44+0+1], v[vgprValuA_X1_I0+8+0+0:vgprValuA_X1_I0+8+0+0+1], v[16:23]
 // Cr += Ar*Br
/*  mfmaIndex:69  */
/* localReadsVacancy: latencyLeft 5 */
v_mfma_f64_16x16x4_f64 v[56+0:63+0], v[vgprG2LB+44+0:vgprG2LB+44+0+1], v[vgprValuA_X1_I0+8+0+0+2:vgprValuA_X1_I0+8+0+0+2+1], v[56:63]
 // Ci += Ai*Br
/*  mfmaIndex:70  */
/* localReadsVacancy: latencyLeft 5 */
v_mfma_f64_16x16x4_f64 v[16+0:23+0], v[vgprG2LB+44+0+2:vgprG2LB+44+0+2+1], v[246:247], v[16:23]
 // Cr += -Ai*Bi
/*  mfmaIndex:71  */
/* localReadsVacancy: latencyLeft 5 */
v_mfma_f64_16x16x4_f64 v[56+0:63+0], v[vgprG2LB+44+0+2:vgprG2LB+44+0+2+1], v[vgprValuA_X1_I0+8+0+0:vgprValuA_X1_I0+8+0+0+1], v[56:63]
 // Ci += Ar*Bi
/*  mfmaIndex:72  */
	;; [unrolled: 17-line block ×3, first 2 shown]
/* localReadsVacancy: latencyLeft 5 */
v_add_f64 v[246:247], -v[vgprValuA_X1_I0+16+0+0+2:vgprValuA_X1_I0+16+0+0+2+1], 0 // Ai=-Ai
v_mfma_f64_16x16x4_f64 v[32+0:39+0], v[vgprG2LB+44+0:vgprG2LB+44+0+1], v[vgprValuA_X1_I0+16+0+0:vgprValuA_X1_I0+16+0+0+1], v[32:39]
 // Cr += Ar*Br
/*  mfmaIndex:77  */
/* localReadsVacancy: latencyLeft 5 */
v_mfma_f64_16x16x4_f64 v[72+0:79+0], v[vgprG2LB+44+0:vgprG2LB+44+0+1], v[vgprValuA_X1_I0+16+0+0+2:vgprValuA_X1_I0+16+0+0+2+1], v[72:79]
 // Ci += Ai*Br
/*  mfmaIndex:78  */
/* localReadsVacancy: latencyLeft 5 */
v_mfma_f64_16x16x4_f64 v[32+0:39+0], v[vgprG2LB+44+0+2:vgprG2LB+44+0+2+1], v[246:247], v[32:39]
 // Cr += -Ai*Bi
/*  mfmaIndex:79  */
/* localReadsVacancy: latencyLeft 5 */
v_mfma_f64_16x16x4_f64 v[72+0:79+0], v[vgprG2LB+44+0+2:vgprG2LB+44+0+2+1], v[vgprValuA_X1_I0+16+0+0:vgprValuA_X1_I0+16+0+0+1], v[72:79]
 // Ci += Ar*Bi
/* numPrefetchIter=0 */
/* dataAtIterA=2 numReadsIterA=4 skipReadsIterA=1 readsPerIterA=5 */
/* dataAtIterB=2 numReadsIterB=4 skipReadsIterB=1 readsPerIterB=1 */


/* iter 4 */

s_waitcnt vmcnt(21)                                // lgkmcnt=-1 vmcnt=21global read wait for DirectToVgpr

/*  grEndMfmaIndex:4, lwStartMfmaIndex:131, lwEndMfmaIndex:139  */
/*  numMfmaForLR:10, barrierMfmaIndex:149, LocalWritePerMfma:1.060 */
/*  mfmaIndex:80  */
_ds_load_b128 v[vgprValuA_X1_I0+0:vgprValuA_X1_I0+0+3], v[vgprLocalReadAddrA] offset:25600 // L -> Reg lro=1600 swapByteOffset=0 ti=16 vIdx=0 rIdx=0 oIdx=0 buffer=1 iui=0
s_waitcnt lgkmcnt(1)                               // lgkmcnt=0 vmcnt=-1wait for prior local read local write old=0, new=1 newLW=0 newLR=1
v_add_f64 v[246:247], -v[vgprValuA_X0_I0+0+0+0+2:vgprValuA_X0_I0+0+0+0+2+1], 0 // Ai=-Ai
v_mfma_f64_16x16x4_f64 v[0+0:7+0], v[vgprG2LB+48+0:vgprG2LB+48+0+1], v[vgprValuA_X0_I0+0+0+0:vgprValuA_X0_I0+0+0+0+1], v[0:7]
 // Cr += Ar*Br
/*  mfmaIndex:81  */
_ds_load_b128 v[vgprValuA_X1_I0+4:vgprValuA_X1_I0+4+3], v[vgprLocalReadAddrA] offset:25856 // L -> Reg lro=1600 swapByteOffset=0 ti=16 vIdx=1 rIdx=0 oIdx=0 buffer=1 iui=0
v_mfma_f64_16x16x4_f64 v[40+0:47+0], v[vgprG2LB+48+0:vgprG2LB+48+0+1], v[vgprValuA_X0_I0+0+0+0+2:vgprValuA_X0_I0+0+0+0+2+1], v[40:47]
 // Ci += Ai*Br
/*  mfmaIndex:82  */
_ds_load_b128 v[vgprValuA_X1_I0+8:vgprValuA_X1_I0+8+3], v[vgprLocalReadAddrA] offset:26112 // L -> Reg lro=1600 swapByteOffset=0 ti=16 vIdx=2 rIdx=0 oIdx=0 buffer=1 iui=0
v_mfma_f64_16x16x4_f64 v[0+0:7+0], v[vgprG2LB+48+0+2:vgprG2LB+48+0+2+1], v[246:247], v[0:7]
 // Cr += -Ai*Bi
/*  mfmaIndex:83  */
_ds_load_b128 v[vgprValuA_X1_I0+12:vgprValuA_X1_I0+12+3], v[vgprLocalReadAddrA] offset:26368 // L -> Reg lro=1600 swapByteOffset=0 ti=16 vIdx=3 rIdx=0 oIdx=0 buffer=1 iui=0
v_mfma_f64_16x16x4_f64 v[40+0:47+0], v[vgprG2LB+48+0+2:vgprG2LB+48+0+2+1], v[vgprValuA_X0_I0+0+0+0:vgprValuA_X0_I0+0+0+0+1], v[40:47]
 // Ci += Ar*Bi
/*  mfmaIndex:84  */
_ds_load_b128 v[vgprValuA_X1_I0+16:vgprValuA_X1_I0+16+3], v[vgprLocalReadAddrA] offset:26624 // L -> Reg lro=1600 swapByteOffset=0 ti=16 vIdx=4 rIdx=0 oIdx=0 buffer=1 iui=0
/* localReadsVacancy: latencyLeft 1 */
v_add_f64 v[246:247], -v[vgprValuA_X0_I0+4+0+0+2:vgprValuA_X0_I0+4+0+0+2+1], 0 // Ai=-Ai
v_mfma_f64_16x16x4_f64 v[8+0:15+0], v[vgprG2LB+48+0:vgprG2LB+48+0+1], v[vgprValuA_X0_I0+4+0+0:vgprValuA_X0_I0+4+0+0+1], v[8:15]
 // Cr += Ar*Br
/*  mfmaIndex:85  */
/* localReadsVacancy: latencyLeft 5 */
v_mfma_f64_16x16x4_f64 v[48+0:55+0], v[vgprG2LB+48+0:vgprG2LB+48+0+1], v[vgprValuA_X0_I0+4+0+0+2:vgprValuA_X0_I0+4+0+0+2+1], v[48:55]
 // Ci += Ai*Br
/*  mfmaIndex:86  */
/* localReadsVacancy: latencyLeft 5 */
v_mfma_f64_16x16x4_f64 v[8+0:15+0], v[vgprG2LB+48+0+2:vgprG2LB+48+0+2+1], v[246:247], v[8:15]
 // Cr += -Ai*Bi
/*  mfmaIndex:87  */
/* localReadsVacancy: latencyLeft 5 */
v_mfma_f64_16x16x4_f64 v[48+0:55+0], v[vgprG2LB+48+0+2:vgprG2LB+48+0+2+1], v[vgprValuA_X0_I0+4+0+0:vgprValuA_X0_I0+4+0+0+1], v[48:55]
 // Ci += Ar*Bi
/*  mfmaIndex:88  */
/* localReadsVacancy: latencyLeft 5 */
v_add_f64 v[246:247], -v[vgprValuA_X0_I0+8+0+0+2:vgprValuA_X0_I0+8+0+0+2+1], 0 // Ai=-Ai
v_mfma_f64_16x16x4_f64 v[16+0:23+0], v[vgprG2LB+48+0:vgprG2LB+48+0+1], v[vgprValuA_X0_I0+8+0+0:vgprValuA_X0_I0+8+0+0+1], v[16:23]
 // Cr += Ar*Br
/*  mfmaIndex:89  */
/* localReadsVacancy: latencyLeft 5 */
v_mfma_f64_16x16x4_f64 v[56+0:63+0], v[vgprG2LB+48+0:vgprG2LB+48+0+1], v[vgprValuA_X0_I0+8+0+0+2:vgprValuA_X0_I0+8+0+0+2+1], v[56:63]
 // Ci += Ai*Br
/*  mfmaIndex:90  */
/* localReadsVacancy: latencyLeft 5 */
v_mfma_f64_16x16x4_f64 v[16+0:23+0], v[vgprG2LB+48+0+2:vgprG2LB+48+0+2+1], v[246:247], v[16:23]
 // Cr += -Ai*Bi
/*  mfmaIndex:91  */
/* localReadsVacancy: latencyLeft 5 */
v_mfma_f64_16x16x4_f64 v[56+0:63+0], v[vgprG2LB+48+0+2:vgprG2LB+48+0+2+1], v[vgprValuA_X0_I0+8+0+0:vgprValuA_X0_I0+8+0+0+1], v[56:63]
 // Ci += Ar*Bi
/*  mfmaIndex:92  */
	;; [unrolled: 17-line block ×3, first 2 shown]
/* localReadsVacancy: latencyLeft 5 */
v_add_f64 v[246:247], -v[vgprValuA_X0_I0+16+0+0+2:vgprValuA_X0_I0+16+0+0+2+1], 0 // Ai=-Ai
v_mfma_f64_16x16x4_f64 v[32+0:39+0], v[vgprG2LB+48+0:vgprG2LB+48+0+1], v[vgprValuA_X0_I0+16+0+0:vgprValuA_X0_I0+16+0+0+1], v[32:39]
 // Cr += Ar*Br
/*  mfmaIndex:97  */
/* localReadsVacancy: latencyLeft 5 */
v_mfma_f64_16x16x4_f64 v[72+0:79+0], v[vgprG2LB+48+0:vgprG2LB+48+0+1], v[vgprValuA_X0_I0+16+0+0+2:vgprValuA_X0_I0+16+0+0+2+1], v[72:79]
 // Ci += Ai*Br
/*  mfmaIndex:98  */
/* localReadsVacancy: latencyLeft 5 */
v_mfma_f64_16x16x4_f64 v[32+0:39+0], v[vgprG2LB+48+0+2:vgprG2LB+48+0+2+1], v[246:247], v[32:39]
 // Cr += -Ai*Bi
/*  mfmaIndex:99  */
/* localReadsVacancy: latencyLeft 5 */
v_mfma_f64_16x16x4_f64 v[72+0:79+0], v[vgprG2LB+48+0+2:vgprG2LB+48+0+2+1], v[vgprValuA_X0_I0+16+0+0:vgprValuA_X0_I0+16+0+0+1], v[72:79]
 // Ci += Ar*Bi
/* numPrefetchIter=0 */
/* dataAtIterA=3 numReadsIterA=5 skipReadsIterA=1 readsPerIterA=5 */
/* dataAtIterB=3 numReadsIterB=5 skipReadsIterB=1 readsPerIterB=1 */


/* iter 5 */

s_waitcnt vmcnt(20)                                // lgkmcnt=-1 vmcnt=20global read wait for DirectToVgpr

/*  grEndMfmaIndex:4, lwStartMfmaIndex:131, lwEndMfmaIndex:139  */
/*  numMfmaForLR:10, barrierMfmaIndex:149, LocalWritePerMfma:1.060 */
/*  mfmaIndex:100  */
_ds_load_b128 v[vgprValuA_X0_I0+0:vgprValuA_X0_I0+0+3], v[vgprLocalReadAddrA] offset:30720 // L -> Reg lro=1920 swapByteOffset=0 ti=16 vIdx=0 rIdx=0 oIdx=0 buffer=0 iui=0
s_waitcnt lgkmcnt(1)                               // lgkmcnt=0 vmcnt=-1wait for prior local read local write old=0, new=1 newLW=0 newLR=1
v_add_f64 v[246:247], -v[vgprValuA_X1_I0+0+0+0+2:vgprValuA_X1_I0+0+0+0+2+1], 0 // Ai=-Ai
v_mfma_f64_16x16x4_f64 v[0+0:7+0], v[vgprG2LB+52+0:vgprG2LB+52+0+1], v[vgprValuA_X1_I0+0+0+0:vgprValuA_X1_I0+0+0+0+1], v[0:7]
 // Cr += Ar*Br
/*  mfmaIndex:101  */
_ds_load_b128 v[vgprValuA_X0_I0+4:vgprValuA_X0_I0+4+3], v[vgprLocalReadAddrA] offset:30976 // L -> Reg lro=1920 swapByteOffset=0 ti=16 vIdx=1 rIdx=0 oIdx=0 buffer=0 iui=0
v_mfma_f64_16x16x4_f64 v[40+0:47+0], v[vgprG2LB+52+0:vgprG2LB+52+0+1], v[vgprValuA_X1_I0+0+0+0+2:vgprValuA_X1_I0+0+0+0+2+1], v[40:47]
 // Ci += Ai*Br
/*  mfmaIndex:102  */
_ds_load_b128 v[vgprValuA_X0_I0+8:vgprValuA_X0_I0+8+3], v[vgprLocalReadAddrA] offset:31232 // L -> Reg lro=1920 swapByteOffset=0 ti=16 vIdx=2 rIdx=0 oIdx=0 buffer=0 iui=0
v_mfma_f64_16x16x4_f64 v[0+0:7+0], v[vgprG2LB+52+0+2:vgprG2LB+52+0+2+1], v[246:247], v[0:7]
 // Cr += -Ai*Bi
/*  mfmaIndex:103  */
_ds_load_b128 v[vgprValuA_X0_I0+12:vgprValuA_X0_I0+12+3], v[vgprLocalReadAddrA] offset:31488 // L -> Reg lro=1920 swapByteOffset=0 ti=16 vIdx=3 rIdx=0 oIdx=0 buffer=0 iui=0
v_mfma_f64_16x16x4_f64 v[40+0:47+0], v[vgprG2LB+52+0+2:vgprG2LB+52+0+2+1], v[vgprValuA_X1_I0+0+0+0:vgprValuA_X1_I0+0+0+0+1], v[40:47]
 // Ci += Ar*Bi
/*  mfmaIndex:104  */
_ds_load_b128 v[vgprValuA_X0_I0+16:vgprValuA_X0_I0+16+3], v[vgprLocalReadAddrA] offset:31744 // L -> Reg lro=1920 swapByteOffset=0 ti=16 vIdx=4 rIdx=0 oIdx=0 buffer=0 iui=0
/* localReadsVacancy: latencyLeft 1 */
v_add_f64 v[246:247], -v[vgprValuA_X1_I0+4+0+0+2:vgprValuA_X1_I0+4+0+0+2+1], 0 // Ai=-Ai
v_mfma_f64_16x16x4_f64 v[8+0:15+0], v[vgprG2LB+52+0:vgprG2LB+52+0+1], v[vgprValuA_X1_I0+4+0+0:vgprValuA_X1_I0+4+0+0+1], v[8:15]
 // Cr += Ar*Br
/*  mfmaIndex:105  */
/* localReadsVacancy: latencyLeft 5 */
v_mfma_f64_16x16x4_f64 v[48+0:55+0], v[vgprG2LB+52+0:vgprG2LB+52+0+1], v[vgprValuA_X1_I0+4+0+0+2:vgprValuA_X1_I0+4+0+0+2+1], v[48:55]
 // Ci += Ai*Br
/*  mfmaIndex:106  */
/* localReadsVacancy: latencyLeft 5 */
v_mfma_f64_16x16x4_f64 v[8+0:15+0], v[vgprG2LB+52+0+2:vgprG2LB+52+0+2+1], v[246:247], v[8:15]
 // Cr += -Ai*Bi
/*  mfmaIndex:107  */
/* localReadsVacancy: latencyLeft 5 */
v_mfma_f64_16x16x4_f64 v[48+0:55+0], v[vgprG2LB+52+0+2:vgprG2LB+52+0+2+1], v[vgprValuA_X1_I0+4+0+0:vgprValuA_X1_I0+4+0+0+1], v[48:55]
 // Ci += Ar*Bi
/*  mfmaIndex:108  */
/* localReadsVacancy: latencyLeft 5 */
v_add_f64 v[246:247], -v[vgprValuA_X1_I0+8+0+0+2:vgprValuA_X1_I0+8+0+0+2+1], 0 // Ai=-Ai
v_mfma_f64_16x16x4_f64 v[16+0:23+0], v[vgprG2LB+52+0:vgprG2LB+52+0+1], v[vgprValuA_X1_I0+8+0+0:vgprValuA_X1_I0+8+0+0+1], v[16:23]
 // Cr += Ar*Br
/*  mfmaIndex:109  */
/* localReadsVacancy: latencyLeft 5 */
v_mfma_f64_16x16x4_f64 v[56+0:63+0], v[vgprG2LB+52+0:vgprG2LB+52+0+1], v[vgprValuA_X1_I0+8+0+0+2:vgprValuA_X1_I0+8+0+0+2+1], v[56:63]
 // Ci += Ai*Br
/*  mfmaIndex:110  */
/* localReadsVacancy: latencyLeft 5 */
v_mfma_f64_16x16x4_f64 v[16+0:23+0], v[vgprG2LB+52+0+2:vgprG2LB+52+0+2+1], v[246:247], v[16:23]
 // Cr += -Ai*Bi
/*  mfmaIndex:111  */
/* localReadsVacancy: latencyLeft 5 */
v_mfma_f64_16x16x4_f64 v[56+0:63+0], v[vgprG2LB+52+0+2:vgprG2LB+52+0+2+1], v[vgprValuA_X1_I0+8+0+0:vgprValuA_X1_I0+8+0+0+1], v[56:63]
 // Ci += Ar*Bi
/*  mfmaIndex:112  */
	;; [unrolled: 17-line block ×3, first 2 shown]
/* localReadsVacancy: latencyLeft 5 */
v_add_f64 v[246:247], -v[vgprValuA_X1_I0+16+0+0+2:vgprValuA_X1_I0+16+0+0+2+1], 0 // Ai=-Ai
v_mfma_f64_16x16x4_f64 v[32+0:39+0], v[vgprG2LB+52+0:vgprG2LB+52+0+1], v[vgprValuA_X1_I0+16+0+0:vgprValuA_X1_I0+16+0+0+1], v[32:39]
 // Cr += Ar*Br
/*  mfmaIndex:117  */
/* localReadsVacancy: latencyLeft 5 */
v_mfma_f64_16x16x4_f64 v[72+0:79+0], v[vgprG2LB+52+0:vgprG2LB+52+0+1], v[vgprValuA_X1_I0+16+0+0+2:vgprValuA_X1_I0+16+0+0+2+1], v[72:79]
 // Ci += Ai*Br
/*  mfmaIndex:118  */
/* localReadsVacancy: latencyLeft 5 */
v_mfma_f64_16x16x4_f64 v[32+0:39+0], v[vgprG2LB+52+0+2:vgprG2LB+52+0+2+1], v[246:247], v[32:39]
 // Cr += -Ai*Bi
/*  mfmaIndex:119  */
/* localReadsVacancy: latencyLeft 5 */
v_mfma_f64_16x16x4_f64 v[72+0:79+0], v[vgprG2LB+52+0+2:vgprG2LB+52+0+2+1], v[vgprValuA_X1_I0+16+0+0:vgprValuA_X1_I0+16+0+0+1], v[72:79]
 // Ci += Ar*Bi
/* numPrefetchIter=0 */
/* dataAtIterA=4 numReadsIterA=6 skipReadsIterA=1 readsPerIterA=5 */
/* dataAtIterB=4 numReadsIterB=6 skipReadsIterB=1 readsPerIterB=1 */


/* iter 6 (reset local read pointers iteration)  (swap and reset local write pointers iteration)  (swap local read pointers iteration)  */

s_waitcnt vmcnt(19)                                // lgkmcnt=-1 vmcnt=19global read wait for DirectToVgpr

/*  grEndMfmaIndex:4, lwStartMfmaIndex:131, lwEndMfmaIndex:139  */
/*  numMfmaForLR:10, barrierMfmaIndex:149, LocalWritePerMfma:1.060 */
/*  mfmaIndex:120  */
_ds_load_b128 v[vgprValuA_X1_I0+0:vgprValuA_X1_I0+0+3], v[vgprLocalReadAddrA] offset:35840 // L -> Reg lro=2240 swapByteOffset=0 ti=16 vIdx=0 rIdx=0 oIdx=0 buffer=1 iui=0
s_waitcnt lgkmcnt(1)                               // lgkmcnt=0 vmcnt=-1wait for prior local read local write old=0, new=1 newLW=0 newLR=1
v_add_f64 v[246:247], -v[vgprValuA_X0_I0+0+0+0+2:vgprValuA_X0_I0+0+0+0+2+1], 0 // Ai=-Ai
v_mfma_f64_16x16x4_f64 v[0+0:7+0], v[vgprG2LB+56+0:vgprG2LB+56+0+1], v[vgprValuA_X0_I0+0+0+0:vgprValuA_X0_I0+0+0+0+1], v[0:7]
 // Cr += Ar*Br
/*  mfmaIndex:121  */
_ds_load_b128 v[vgprValuA_X1_I0+4:vgprValuA_X1_I0+4+3], v[vgprLocalReadAddrA] offset:36096 // L -> Reg lro=2240 swapByteOffset=0 ti=16 vIdx=1 rIdx=0 oIdx=0 buffer=1 iui=0
v_mfma_f64_16x16x4_f64 v[40+0:47+0], v[vgprG2LB+56+0:vgprG2LB+56+0+1], v[vgprValuA_X0_I0+0+0+0+2:vgprValuA_X0_I0+0+0+0+2+1], v[40:47]
 // Ci += Ai*Br
/*  mfmaIndex:122  */
_ds_load_b128 v[vgprValuA_X1_I0+8:vgprValuA_X1_I0+8+3], v[vgprLocalReadAddrA] offset:36352 // L -> Reg lro=2240 swapByteOffset=0 ti=16 vIdx=2 rIdx=0 oIdx=0 buffer=1 iui=0
v_mfma_f64_16x16x4_f64 v[0+0:7+0], v[vgprG2LB+56+0+2:vgprG2LB+56+0+2+1], v[246:247], v[0:7]
 // Cr += -Ai*Bi
/*  mfmaIndex:123  */
_ds_load_b128 v[vgprValuA_X1_I0+12:vgprValuA_X1_I0+12+3], v[vgprLocalReadAddrA] offset:36608 // L -> Reg lro=2240 swapByteOffset=0 ti=16 vIdx=3 rIdx=0 oIdx=0 buffer=1 iui=0
v_mfma_f64_16x16x4_f64 v[40+0:47+0], v[vgprG2LB+56+0+2:vgprG2LB+56+0+2+1], v[vgprValuA_X0_I0+0+0+0:vgprValuA_X0_I0+0+0+0+1], v[40:47]
 // Ci += Ar*Bi
/*  mfmaIndex:124  */
_ds_load_b128 v[vgprValuA_X1_I0+16:vgprValuA_X1_I0+16+3], v[vgprLocalReadAddrA] offset:36864 // L -> Reg lro=2240 swapByteOffset=0 ti=16 vIdx=4 rIdx=0 oIdx=0 buffer=1 iui=0
/* localReadsVacancy: latencyLeft 1 */
v_add_f64 v[246:247], -v[vgprValuA_X0_I0+4+0+0+2:vgprValuA_X0_I0+4+0+0+2+1], 0 // Ai=-Ai
v_mfma_f64_16x16x4_f64 v[8+0:15+0], v[vgprG2LB+56+0:vgprG2LB+56+0+1], v[vgprValuA_X0_I0+4+0+0:vgprValuA_X0_I0+4+0+0+1], v[8:15]
 // Cr += Ar*Br
/*  mfmaIndex:125  */
/* localReadsVacancy: latencyLeft 5 */
v_mfma_f64_16x16x4_f64 v[48+0:55+0], v[vgprG2LB+56+0:vgprG2LB+56+0+1], v[vgprValuA_X0_I0+4+0+0+2:vgprValuA_X0_I0+4+0+0+2+1], v[48:55]
 // Ci += Ai*Br
/*  mfmaIndex:126  */
/* localReadsVacancy: latencyLeft 5 */
v_mfma_f64_16x16x4_f64 v[8+0:15+0], v[vgprG2LB+56+0+2:vgprG2LB+56+0+2+1], v[246:247], v[8:15]
 // Cr += -Ai*Bi
/*  mfmaIndex:127  */
/* localReadsVacancy: latencyLeft 5 */
v_mfma_f64_16x16x4_f64 v[48+0:55+0], v[vgprG2LB+56+0+2:vgprG2LB+56+0+2+1], v[vgprValuA_X0_I0+4+0+0:vgprValuA_X0_I0+4+0+0+1], v[48:55]
 // Ci += Ar*Bi
/*  mfmaIndex:128  */
/* localReadsVacancy: latencyLeft 5 */
v_add_f64 v[246:247], -v[vgprValuA_X0_I0+8+0+0+2:vgprValuA_X0_I0+8+0+0+2+1], 0 // Ai=-Ai
v_mfma_f64_16x16x4_f64 v[16+0:23+0], v[vgprG2LB+56+0:vgprG2LB+56+0+1], v[vgprValuA_X0_I0+8+0+0:vgprValuA_X0_I0+8+0+0+1], v[16:23]
 // Cr += Ar*Br
/*  mfmaIndex:129  */
/* localReadsVacancy: latencyLeft 5 */
v_mfma_f64_16x16x4_f64 v[56+0:63+0], v[vgprG2LB+56+0:vgprG2LB+56+0+1], v[vgprValuA_X0_I0+8+0+0+2:vgprValuA_X0_I0+8+0+0+2+1], v[56:63]
 // Ci += Ai*Br
/*  mfmaIndex:130  */
/* localReadsVacancy: latencyLeft 5 */
/* 1 LDS buffer: read-sync-write */
s_waitcnt lgkmcnt(0)                               // 
s_barrier                                          // 
v_mfma_f64_16x16x4_f64 v[16+0:23+0], v[vgprG2LB+56+0+2:vgprG2LB+56+0+2+1], v[246:247], v[16:23]
 // Cr += -Ai*Bi
/*  mfmaIndex:131  */
/* sched write - iter 6 writesPerItem=1 */
s_waitcnt vmcnt(0)                                 // lgkmcnt=-1 vmcnt=0wait for global read before writing to local
_ds_store_b128 v[vgprLocalWriteAddrA], v[vgprG2LA+0:vgprG2LA+0+3] offset:0 // lwoA_0_0_0_0 = (0*LSCA) + (0*LSPA)(*MT0I+PAD) = 0
/* sched write - iter 6 writesPerItem=1 */
s_waitcnt vmcnt(0)                                 // lgkmcnt=-1 vmcnt=0wait for global read before writing to local
_ds_store_b128 v[vgprLocalWriteAddrA], v[vgprG2LA+4:vgprG2LA+4+3] offset:256 // lwoA_1_0_0_0 = (1*LSCA) + (0*LSPA)(*MT0I+PAD) = 256
v_mfma_f64_16x16x4_f64 v[56+0:63+0], v[vgprG2LB+56+0+2:vgprG2LB+56+0+2+1], v[vgprValuA_X0_I0+8+0+0:vgprValuA_X0_I0+8+0+0+1], v[56:63]
 // Ci += Ar*Bi
/*  mfmaIndex:132  */
/* sched write - iter 6 writesPerItem=1 */
s_waitcnt vmcnt(0)                                 // lgkmcnt=-1 vmcnt=0wait for global read before writing to local
_ds_store_b128 v[vgprLocalWriteAddrA], v[vgprG2LA+8:vgprG2LA+8+3] offset:512 // lwoA_2_0_0_0 = (2*LSCA) + (0*LSPA)(*MT0I+PAD) = 512
v_add_f64 v[246:247], -v[vgprValuA_X0_I0+12+0+0+2:vgprValuA_X0_I0+12+0+0+2+1], 0 // Ai=-Ai
v_mfma_f64_16x16x4_f64 v[24+0:31+0], v[vgprG2LB+56+0:vgprG2LB+56+0+1], v[vgprValuA_X0_I0+12+0+0:vgprValuA_X0_I0+12+0+0+1], v[24:31]
 // Cr += Ar*Br
/*  mfmaIndex:133  */
/* sched write - iter 6 writesPerItem=1 */
s_waitcnt vmcnt(0)                                 // lgkmcnt=-1 vmcnt=0wait for global read before writing to local
_ds_store_b128 v[vgprLocalWriteAddrA], v[vgprG2LA+12:vgprG2LA+12+3] offset:768 // lwoA_3_0_0_0 = (3*LSCA) + (0*LSPA)(*MT0I+PAD) = 768
v_mfma_f64_16x16x4_f64 v[64+0:71+0], v[vgprG2LB+56+0:vgprG2LB+56+0+1], v[vgprValuA_X0_I0+12+0+0+2:vgprValuA_X0_I0+12+0+0+2+1], v[64:71]
 // Ci += Ai*Br
/*  mfmaIndex:134  */
/* sched write - iter 6 writesPerItem=1 */
s_waitcnt vmcnt(0)                                 // lgkmcnt=-1 vmcnt=0wait for global read before writing to local
_ds_store_b128 v[vgprLocalWriteAddrA], v[vgprG2LA+16:vgprG2LA+16+3] offset:1024 // lwoA_4_0_0_0 = (4*LSCA) + (0*LSPA)(*MT0I+PAD) = 1024
v_mfma_f64_16x16x4_f64 v[24+0:31+0], v[vgprG2LB+56+0+2:vgprG2LB+56+0+2+1], v[246:247], v[24:31]
 // Cr += -Ai*Bi
/*  mfmaIndex:135  */
/* sched write - iter 6 writesPerItem=1 */
s_waitcnt vmcnt(0)                                 // lgkmcnt=-1 vmcnt=0wait for global read before writing to local
_ds_store_b128 v[vgprLocalWriteAddrA], v[vgprG2LA+20:vgprG2LA+20+3] offset:20480 // lwoA_0_0_1_0 = (0*LSCA) + (1*LSPA)(*MT0I+PAD) = 20480
v_mfma_f64_16x16x4_f64 v[64+0:71+0], v[vgprG2LB+56+0+2:vgprG2LB+56+0+2+1], v[vgprValuA_X0_I0+12+0+0:vgprValuA_X0_I0+12+0+0+1], v[64:71]
 // Ci += Ar*Bi
/*  mfmaIndex:136  */
/* sched write - iter 6 writesPerItem=1 */
s_waitcnt vmcnt(0)                                 // lgkmcnt=-1 vmcnt=0wait for global read before writing to local
_ds_store_b128 v[vgprLocalWriteAddrA], v[vgprG2LA+24:vgprG2LA+24+3] offset:20736 // lwoA_1_0_1_0 = (1*LSCA) + (1*LSPA)(*MT0I+PAD) = 20736
v_add_f64 v[246:247], -v[vgprValuA_X0_I0+16+0+0+2:vgprValuA_X0_I0+16+0+0+2+1], 0 // Ai=-Ai
v_mfma_f64_16x16x4_f64 v[32+0:39+0], v[vgprG2LB+56+0:vgprG2LB+56+0+1], v[vgprValuA_X0_I0+16+0+0:vgprValuA_X0_I0+16+0+0+1], v[32:39]
 // Cr += Ar*Br
/*  mfmaIndex:137  */
/* sched write - iter 6 writesPerItem=1 */
s_waitcnt vmcnt(0)                                 // lgkmcnt=-1 vmcnt=0wait for global read before writing to local
_ds_store_b128 v[vgprLocalWriteAddrA], v[vgprG2LA+28:vgprG2LA+28+3] offset:20992 // lwoA_2_0_1_0 = (2*LSCA) + (1*LSPA)(*MT0I+PAD) = 20992
v_mfma_f64_16x16x4_f64 v[72+0:79+0], v[vgprG2LB+56+0:vgprG2LB+56+0+1], v[vgprValuA_X0_I0+16+0+0+2:vgprValuA_X0_I0+16+0+0+2+1], v[72:79]
 // Ci += Ai*Br
/*  mfmaIndex:138  */
/* sched write - iter 6 writesPerItem=1 */
s_waitcnt vmcnt(0)                                 // lgkmcnt=-1 vmcnt=0wait for global read before writing to local
_ds_store_b128 v[vgprLocalWriteAddrA], v[vgprG2LA+32:vgprG2LA+32+3] offset:21248 // lwoA_3_0_1_0 = (3*LSCA) + (1*LSPA)(*MT0I+PAD) = 21248
v_mfma_f64_16x16x4_f64 v[32+0:39+0], v[vgprG2LB+56+0+2:vgprG2LB+56+0+2+1], v[246:247], v[32:39]
 // Cr += -Ai*Bi
/*  mfmaIndex:139  */
/* sched write - iter 6 writesPerItem=1 */
s_waitcnt vmcnt(0)                                 // lgkmcnt=-1 vmcnt=0wait for global read before writing to local
_ds_store_b128 v[vgprLocalWriteAddrA], v[vgprG2LA+36:vgprG2LA+36+3] offset:21504 // lwoA_4_0_1_0 = (4*LSCA) + (1*LSPA)(*MT0I+PAD) = 21504

/* local write swap offsets a */

/* local write swap offsets b */

/* local read swap offsets a */

/* local read swap offsets b */

/* local read init pointers a */

/* localReadInitPointers */

/* local read init pointers b */
v_mfma_f64_16x16x4_f64 v[72+0:79+0], v[vgprG2LB+56+0+2:vgprG2LB+56+0+2+1], v[vgprValuA_X0_I0+16+0+0:vgprValuA_X0_I0+16+0+0+1], v[72:79]
 // Ci += Ar*Bi
/* numPrefetchIter=0 */
/* dataAtIterA=5 numReadsIterA=7 skipReadsIterA=1 readsPerIterA=5 */
/* dataAtIterB=5 numReadsIterB=7 skipReadsIterB=1 readsPerIterB=1 */


/* iter 7 */

/*  grEndMfmaIndex:4, lwStartMfmaIndex:131, lwEndMfmaIndex:139  */
/*  numMfmaForLR:10, barrierMfmaIndex:149, LocalWritePerMfma:1.060 */
/*  mfmaIndex:140  */
s_waitcnt lgkmcnt(10)                              // lgkmcnt=0 vmcnt=-1wait for prior local read local write old=0, new=10 newLW=10 newLR=0
v_add_f64 v[246:247], -v[vgprValuA_X1_I0+0+0+0+2:vgprValuA_X1_I0+0+0+0+2+1], 0 // Ai=-Ai
v_mfma_f64_16x16x4_f64 v[0+0:7+0], v[vgprG2LB+60+0:vgprG2LB+60+0+1], v[vgprValuA_X1_I0+0+0+0:vgprValuA_X1_I0+0+0+0+1], v[0:7]
 // Cr += Ar*Br
/*  mfmaIndex:141  */
v_mfma_f64_16x16x4_f64 v[40+0:47+0], v[vgprG2LB+60+0:vgprG2LB+60+0+1], v[vgprValuA_X1_I0+0+0+0+2:vgprValuA_X1_I0+0+0+0+2+1], v[40:47]
 // Ci += Ai*Br
/*  mfmaIndex:142  */
v_mfma_f64_16x16x4_f64 v[0+0:7+0], v[vgprG2LB+60+0+2:vgprG2LB+60+0+2+1], v[246:247], v[0:7]
 // Cr += -Ai*Bi
/*  mfmaIndex:143  */
v_mfma_f64_16x16x4_f64 v[40+0:47+0], v[vgprG2LB+60+0+2:vgprG2LB+60+0+2+1], v[vgprValuA_X1_I0+0+0+0:vgprValuA_X1_I0+0+0+0+1], v[40:47]
 // Ci += Ar*Bi
/*  mfmaIndex:144  */
v_add_f64 v[246:247], -v[vgprValuA_X1_I0+4+0+0+2:vgprValuA_X1_I0+4+0+0+2+1], 0 // Ai=-Ai
v_mfma_f64_16x16x4_f64 v[8+0:15+0], v[vgprG2LB+60+0:vgprG2LB+60+0+1], v[vgprValuA_X1_I0+4+0+0:vgprValuA_X1_I0+4+0+0+1], v[8:15]
 // Cr += Ar*Br
/*  mfmaIndex:145  */
v_mfma_f64_16x16x4_f64 v[48+0:55+0], v[vgprG2LB+60+0:vgprG2LB+60+0+1], v[vgprValuA_X1_I0+4+0+0+2:vgprValuA_X1_I0+4+0+0+2+1], v[48:55]
 // Ci += Ai*Br
/*  mfmaIndex:146  */
v_mfma_f64_16x16x4_f64 v[8+0:15+0], v[vgprG2LB+60+0+2:vgprG2LB+60+0+2+1], v[246:247], v[8:15]
 // Cr += -Ai*Bi
/*  mfmaIndex:147  */
v_mfma_f64_16x16x4_f64 v[48+0:55+0], v[vgprG2LB+60+0+2:vgprG2LB+60+0+2+1], v[vgprValuA_X1_I0+4+0+0:vgprValuA_X1_I0+4+0+0+1], v[48:55]
 // Ci += Ar*Bi
/*  mfmaIndex:148  */
v_add_f64 v[246:247], -v[vgprValuA_X1_I0+8+0+0+2:vgprValuA_X1_I0+8+0+0+2+1], 0 // Ai=-Ai
v_mfma_f64_16x16x4_f64 v[16+0:23+0], v[vgprG2LB+60+0:vgprG2LB+60+0+1], v[vgprValuA_X1_I0+8+0+0:vgprValuA_X1_I0+8+0+0+1], v[16:23]
 // Cr += Ar*Br
/*  mfmaIndex:149  */
s_waitcnt lgkmcnt(0)                               // lgkmcnt=0 vmcnt=-13wait for local write
// Skip force waitcnt0
s_barrier //
v_mfma_f64_16x16x4_f64 v[56+0:63+0], v[vgprG2LB+60+0:vgprG2LB+60+0+1], v[vgprValuA_X1_I0+8+0+0+2:vgprValuA_X1_I0+8+0+0+2+1], v[56:63]
 // Ci += Ai*Br
/*  mfmaIndex:150  */
_ds_load_b128 v[vgprValuA_X0_I0+0:vgprValuA_X0_I0+0+3], v[vgprLocalReadAddrA] offset:0 // L -> Reg lro=0 swapByteOffset=0 ti=16 vIdx=0 rIdx=0 oIdx=0 buffer=0 iui=0
v_mfma_f64_16x16x4_f64 v[16+0:23+0], v[vgprG2LB+60+0+2:vgprG2LB+60+0+2+1], v[246:247], v[16:23]
 // Cr += -Ai*Bi
/*  mfmaIndex:151  */
_ds_load_b128 v[vgprValuA_X0_I0+4:vgprValuA_X0_I0+4+3], v[vgprLocalReadAddrA] offset:256 // L -> Reg lro=0 swapByteOffset=0 ti=16 vIdx=1 rIdx=0 oIdx=0 buffer=0 iui=0
v_mfma_f64_16x16x4_f64 v[56+0:63+0], v[vgprG2LB+60+0+2:vgprG2LB+60+0+2+1], v[vgprValuA_X1_I0+8+0+0:vgprValuA_X1_I0+8+0+0+1], v[56:63]
 // Ci += Ar*Bi
/*  mfmaIndex:152  */
_ds_load_b128 v[vgprValuA_X0_I0+8:vgprValuA_X0_I0+8+3], v[vgprLocalReadAddrA] offset:512 // L -> Reg lro=0 swapByteOffset=0 ti=16 vIdx=2 rIdx=0 oIdx=0 buffer=0 iui=0
v_add_f64 v[246:247], -v[vgprValuA_X1_I0+12+0+0+2:vgprValuA_X1_I0+12+0+0+2+1], 0 // Ai=-Ai
v_mfma_f64_16x16x4_f64 v[24+0:31+0], v[vgprG2LB+60+0:vgprG2LB+60+0+1], v[vgprValuA_X1_I0+12+0+0:vgprValuA_X1_I0+12+0+0+1], v[24:31]
 // Cr += Ar*Br
/*  mfmaIndex:153  */
_ds_load_b128 v[vgprValuA_X0_I0+12:vgprValuA_X0_I0+12+3], v[vgprLocalReadAddrA] offset:768 // L -> Reg lro=0 swapByteOffset=0 ti=16 vIdx=3 rIdx=0 oIdx=0 buffer=0 iui=0
v_mfma_f64_16x16x4_f64 v[64+0:71+0], v[vgprG2LB+60+0:vgprG2LB+60+0+1], v[vgprValuA_X1_I0+12+0+0+2:vgprValuA_X1_I0+12+0+0+2+1], v[64:71]
 // Ci += Ai*Br
/*  mfmaIndex:154  */
_ds_load_b128 v[vgprValuA_X0_I0+16:vgprValuA_X0_I0+16+3], v[vgprLocalReadAddrA] offset:1024 // L -> Reg lro=0 swapByteOffset=0 ti=16 vIdx=4 rIdx=0 oIdx=0 buffer=0 iui=0
v_mfma_f64_16x16x4_f64 v[24+0:31+0], v[vgprG2LB+60+0+2:vgprG2LB+60+0+2+1], v[246:247], v[24:31]
 // Cr += -Ai*Bi
/*  mfmaIndex:155  */
v_mfma_f64_16x16x4_f64 v[64+0:71+0], v[vgprG2LB+60+0+2:vgprG2LB+60+0+2+1], v[vgprValuA_X1_I0+12+0+0:vgprValuA_X1_I0+12+0+0+1], v[64:71]
 // Ci += Ar*Bi
/*  mfmaIndex:156  */
v_add_f64 v[246:247], -v[vgprValuA_X1_I0+16+0+0+2:vgprValuA_X1_I0+16+0+0+2+1], 0 // Ai=-Ai
v_mfma_f64_16x16x4_f64 v[32+0:39+0], v[vgprG2LB+60+0:vgprG2LB+60+0+1], v[vgprValuA_X1_I0+16+0+0:vgprValuA_X1_I0+16+0+0+1], v[32:39]
 // Cr += Ar*Br
/*  mfmaIndex:157  */
v_mfma_f64_16x16x4_f64 v[72+0:79+0], v[vgprG2LB+60+0:vgprG2LB+60+0+1], v[vgprValuA_X1_I0+16+0+0+2:vgprValuA_X1_I0+16+0+0+2+1], v[72:79]
 // Ci += Ai*Br
/*  mfmaIndex:158  */
v_mfma_f64_16x16x4_f64 v[32+0:39+0], v[vgprG2LB+60+0+2:vgprG2LB+60+0+2+1], v[246:247], v[32:39]
 // Cr += -Ai*Bi
/*  mfmaIndex:159  */
v_mfma_f64_16x16x4_f64 v[72+0:79+0], v[vgprG2LB+60+0+2:vgprG2LB+60+0+2+1], v[vgprValuA_X1_I0+16+0+0:vgprValuA_X1_I0+16+0+0+1], v[72:79]
 // Ci += Ar*Bi
/* numPrefetchIter=1 */
/* dataAtIterA=6 numReadsIterA=7 skipReadsIterA=1 readsPerIterA=5 */
/* dataAtIterB=6 numReadsIterB=7 skipReadsIterB=1 readsPerIterB=1 */

s_branch label_0018                                // Skip even code
label_0017: // EvenStartNoGlobalLoadLoopOrd 


/* iter 0 */

s_waitcnt vmcnt(25)                                // lgkmcnt=-1 vmcnt=25global read wait for DirectToVgpr

/*  grEndMfmaIndex:4, lwStartMfmaIndex:131, lwEndMfmaIndex:139  */
/*  numMfmaForLR:10, barrierMfmaIndex:149, LocalWritePerMfma:1.060 */
/*  mfmaIndex:0  */
s_waitcnt lgkmcnt(0)                               // lgkmcnt=0 vmcnt=-1wait for prior local read local write old=0, new=0 newLW=0 newLR=0
v_add_f64 v[246:247], -v[vgprValuA_X0_I0+0+0+0+2:vgprValuA_X0_I0+0+0+0+2+1], 0 // Ai=-Ai
v_mfma_f64_16x16x4_f64 v[0+0:7+0], v[vgprG2LB+0+0:vgprG2LB+0+0+1], v[vgprValuA_X0_I0+0+0+0:vgprValuA_X0_I0+0+0+0+1], v[0:7]
 // Cr += Ar*Br
/*  mfmaIndex:1  */
_ds_load_b128 v[vgprValuA_X1_I0+0:vgprValuA_X1_I0+0+3], v[vgprLocalReadAddrA] offset:5120 // L -> Reg lro=320 swapByteOffset=0 ti=16 vIdx=0 rIdx=0 oIdx=0 buffer=1 iui=0

/* global read inc A loopL */
s_add_u32 s[sgprSrdA+0], s[sgprSrdA+0], s[sgprGlobalReadIncsA+0] // gra SRD += inc(lower)
s_addc_u32  s[sgprSrdA+1], s[sgprSrdA+1], 0        // gra SRD += inc(upper)
s_sub_u32 s[sgprShadowLimitA+0], s[sgprShadowLimitA+0], s[sgprGlobalReadIncsA+0] // limit -= inc)
v_mfma_f64_16x16x4_f64 v[40+0:47+0], v[vgprG2LB+0+0:vgprG2LB+0+0+1], v[vgprValuA_X0_I0+0+0+0+2:vgprValuA_X0_I0+0+0+0+2+1], v[40:47]
 // Ci += Ai*Br
/*  mfmaIndex:2  */
_ds_load_b128 v[vgprValuA_X1_I0+4:vgprValuA_X1_I0+4+3], v[vgprLocalReadAddrA] offset:5376 // L -> Reg lro=320 swapByteOffset=0 ti=16 vIdx=1 rIdx=0 oIdx=0 buffer=1 iui=0
s_subb_u32 s[sgprShadowLimitA+1], s[sgprShadowLimitA+1], 0 // limit -= inc)
s_cmp_eq_u32 s[sgprShadowLimitA+1], 0              // are we within 2^32?
s_cmov_b32 s[sgprSrdA+2], s[sgprShadowLimitA+0]    // Move shadow to real if we are within 2^32
v_mfma_f64_16x16x4_f64 v[0+0:7+0], v[vgprG2LB+0+0+2:vgprG2LB+0+0+2+1], v[246:247], v[0:7]
 // Cr += -Ai*Bi
/*  mfmaIndex:3  */
_ds_load_b128 v[vgprValuA_X1_I0+8:vgprValuA_X1_I0+8+3], v[vgprLocalReadAddrA] offset:5632 // L -> Reg lro=320 swapByteOffset=0 ti=16 vIdx=2 rIdx=0 oIdx=0 buffer=1 iui=0

/* global read inc B loopL */
s_add_u32 s[sgprSrdB+0], s[sgprSrdB+0], s[sgprGlobalReadIncsB+0] // gra SRD += inc(lower)
s_addc_u32  s[sgprSrdB+1], s[sgprSrdB+1], 0        // gra SRD += inc(upper)
s_sub_u32 s[sgprShadowLimitB+0], s[sgprShadowLimitB+0], s[sgprGlobalReadIncsB+0] // limit -= inc)
v_mfma_f64_16x16x4_f64 v[40+0:47+0], v[vgprG2LB+0+0+2:vgprG2LB+0+0+2+1], v[vgprValuA_X0_I0+0+0+0:vgprValuA_X0_I0+0+0+0+1], v[40:47]
 // Ci += Ar*Bi
/*  mfmaIndex:4  */
_ds_load_b128 v[vgprValuA_X1_I0+12:vgprValuA_X1_I0+12+3], v[vgprLocalReadAddrA] offset:5888 // L -> Reg lro=320 swapByteOffset=0 ti=16 vIdx=3 rIdx=0 oIdx=0 buffer=1 iui=0
s_subb_u32 s[sgprShadowLimitB+1], s[sgprShadowLimitB+1], 0 // limit -= inc)
s_cmp_eq_u32 s[sgprShadowLimitB+1], 0              // are we within 2^32?
s_cmov_b32 s[sgprSrdB+2], s[sgprShadowLimitB+0]    // Move shadow to real if we are within 2^32
v_add_f64 v[246:247], -v[vgprValuA_X0_I0+4+0+0+2:vgprValuA_X0_I0+4+0+0+2+1], 0 // Ai=-Ai
v_mfma_f64_16x16x4_f64 v[8+0:15+0], v[vgprG2LB+0+0:vgprG2LB+0+0+1], v[vgprValuA_X0_I0+4+0+0:vgprValuA_X0_I0+4+0+0+1], v[8:15]
 // Cr += Ar*Br
/*  mfmaIndex:5  */
_ds_load_b128 v[vgprValuA_X1_I0+16:vgprValuA_X1_I0+16+3], v[vgprLocalReadAddrA] offset:6144 // L -> Reg lro=320 swapByteOffset=0 ti=16 vIdx=4 rIdx=0 oIdx=0 buffer=1 iui=0
/* localReadsVacancy: latencyLeft 1 */
v_mfma_f64_16x16x4_f64 v[48+0:55+0], v[vgprG2LB+0+0:vgprG2LB+0+0+1], v[vgprValuA_X0_I0+4+0+0+2:vgprValuA_X0_I0+4+0+0+2+1], v[48:55]
 // Ci += Ai*Br
/*  mfmaIndex:6  */
/* localReadsVacancy: latencyLeft 5 */
v_mfma_f64_16x16x4_f64 v[8+0:15+0], v[vgprG2LB+0+0+2:vgprG2LB+0+0+2+1], v[246:247], v[8:15]
 // Cr += -Ai*Bi
/*  mfmaIndex:7  */
/* localReadsVacancy: latencyLeft 5 */
v_mfma_f64_16x16x4_f64 v[48+0:55+0], v[vgprG2LB+0+0+2:vgprG2LB+0+0+2+1], v[vgprValuA_X0_I0+4+0+0:vgprValuA_X0_I0+4+0+0+1], v[48:55]
 // Ci += Ar*Bi
/*  mfmaIndex:8  */
/* localReadsVacancy: latencyLeft 5 */
v_add_f64 v[246:247], -v[vgprValuA_X0_I0+8+0+0+2:vgprValuA_X0_I0+8+0+0+2+1], 0 // Ai=-Ai
v_mfma_f64_16x16x4_f64 v[16+0:23+0], v[vgprG2LB+0+0:vgprG2LB+0+0+1], v[vgprValuA_X0_I0+8+0+0:vgprValuA_X0_I0+8+0+0+1], v[16:23]
 // Cr += Ar*Br
/*  mfmaIndex:9  */
/* localReadsVacancy: latencyLeft 5 */
v_mfma_f64_16x16x4_f64 v[56+0:63+0], v[vgprG2LB+0+0:vgprG2LB+0+0+1], v[vgprValuA_X0_I0+8+0+0+2:vgprValuA_X0_I0+8+0+0+2+1], v[56:63]
 // Ci += Ai*Br
/*  mfmaIndex:10  */
/* localReadsVacancy: latencyLeft 5 */
v_mfma_f64_16x16x4_f64 v[16+0:23+0], v[vgprG2LB+0+0+2:vgprG2LB+0+0+2+1], v[246:247], v[16:23]
 // Cr += -Ai*Bi
/*  mfmaIndex:11  */
/* localReadsVacancy: latencyLeft 5 */
v_mfma_f64_16x16x4_f64 v[56+0:63+0], v[vgprG2LB+0+0+2:vgprG2LB+0+0+2+1], v[vgprValuA_X0_I0+8+0+0:vgprValuA_X0_I0+8+0+0+1], v[56:63]
 // Ci += Ar*Bi
/*  mfmaIndex:12  */
/* localReadsVacancy: latencyLeft 5 */
v_add_f64 v[246:247], -v[vgprValuA_X0_I0+12+0+0+2:vgprValuA_X0_I0+12+0+0+2+1], 0 // Ai=-Ai
v_mfma_f64_16x16x4_f64 v[24+0:31+0], v[vgprG2LB+0+0:vgprG2LB+0+0+1], v[vgprValuA_X0_I0+12+0+0:vgprValuA_X0_I0+12+0+0+1], v[24:31]
 // Cr += Ar*Br
/*  mfmaIndex:13  */
	;; [unrolled: 17-line block ×3, first 2 shown]
/* localReadsVacancy: latencyLeft 5 */
v_mfma_f64_16x16x4_f64 v[72+0:79+0], v[vgprG2LB+0+0:vgprG2LB+0+0+1], v[vgprValuA_X0_I0+16+0+0+2:vgprValuA_X0_I0+16+0+0+2+1], v[72:79]
 // Ci += Ai*Br
/*  mfmaIndex:18  */
/* localReadsVacancy: latencyLeft 5 */
v_mfma_f64_16x16x4_f64 v[32+0:39+0], v[vgprG2LB+0+0+2:vgprG2LB+0+0+2+1], v[246:247], v[32:39]
 // Cr += -Ai*Bi
/*  mfmaIndex:19  */
/* localReadsVacancy: latencyLeft 5 */
v_mfma_f64_16x16x4_f64 v[72+0:79+0], v[vgprG2LB+0+0+2:vgprG2LB+0+0+2+1], v[vgprValuA_X0_I0+16+0+0:vgprValuA_X0_I0+16+0+0+1], v[72:79]
 // Ci += Ar*Bi
/* numPrefetchIter=0 */
/* dataAtIterA=-1 numReadsIterA=1 skipReadsIterA=1 readsPerIterA=5 */
/* dataAtIterB=-1 numReadsIterB=1 skipReadsIterB=1 readsPerIterB=1 */


/* iter 1 */

s_waitcnt vmcnt(24)                                // lgkmcnt=-1 vmcnt=24global read wait for DirectToVgpr

/*  grEndMfmaIndex:4, lwStartMfmaIndex:131, lwEndMfmaIndex:139  */
/*  numMfmaForLR:10, barrierMfmaIndex:149, LocalWritePerMfma:1.060 */
/*  mfmaIndex:20  */
_ds_load_b128 v[vgprValuA_X0_I0+0:vgprValuA_X0_I0+0+3], v[vgprLocalReadAddrA] offset:10240 // L -> Reg lro=640 swapByteOffset=0 ti=16 vIdx=0 rIdx=0 oIdx=0 buffer=0 iui=0
s_waitcnt lgkmcnt(1)                               // lgkmcnt=0 vmcnt=-1wait for prior local read local write old=0, new=1 newLW=0 newLR=1
v_add_f64 v[246:247], -v[vgprValuA_X1_I0+0+0+0+2:vgprValuA_X1_I0+0+0+0+2+1], 0 // Ai=-Ai
v_mfma_f64_16x16x4_f64 v[0+0:7+0], v[vgprG2LB+4+0:vgprG2LB+4+0+1], v[vgprValuA_X1_I0+0+0+0:vgprValuA_X1_I0+0+0+0+1], v[0:7]
 // Cr += Ar*Br
/*  mfmaIndex:21  */
_ds_load_b128 v[vgprValuA_X0_I0+4:vgprValuA_X0_I0+4+3], v[vgprLocalReadAddrA] offset:10496 // L -> Reg lro=640 swapByteOffset=0 ti=16 vIdx=1 rIdx=0 oIdx=0 buffer=0 iui=0
v_mfma_f64_16x16x4_f64 v[40+0:47+0], v[vgprG2LB+4+0:vgprG2LB+4+0+1], v[vgprValuA_X1_I0+0+0+0+2:vgprValuA_X1_I0+0+0+0+2+1], v[40:47]
 // Ci += Ai*Br
/*  mfmaIndex:22  */
_ds_load_b128 v[vgprValuA_X0_I0+8:vgprValuA_X0_I0+8+3], v[vgprLocalReadAddrA] offset:10752 // L -> Reg lro=640 swapByteOffset=0 ti=16 vIdx=2 rIdx=0 oIdx=0 buffer=0 iui=0
v_mfma_f64_16x16x4_f64 v[0+0:7+0], v[vgprG2LB+4+0+2:vgprG2LB+4+0+2+1], v[246:247], v[0:7]
 // Cr += -Ai*Bi
/*  mfmaIndex:23  */
_ds_load_b128 v[vgprValuA_X0_I0+12:vgprValuA_X0_I0+12+3], v[vgprLocalReadAddrA] offset:11008 // L -> Reg lro=640 swapByteOffset=0 ti=16 vIdx=3 rIdx=0 oIdx=0 buffer=0 iui=0
v_mfma_f64_16x16x4_f64 v[40+0:47+0], v[vgprG2LB+4+0+2:vgprG2LB+4+0+2+1], v[vgprValuA_X1_I0+0+0+0:vgprValuA_X1_I0+0+0+0+1], v[40:47]
 // Ci += Ar*Bi
/*  mfmaIndex:24  */
_ds_load_b128 v[vgprValuA_X0_I0+16:vgprValuA_X0_I0+16+3], v[vgprLocalReadAddrA] offset:11264 // L -> Reg lro=640 swapByteOffset=0 ti=16 vIdx=4 rIdx=0 oIdx=0 buffer=0 iui=0
/* localReadsVacancy: latencyLeft 1 */
v_add_f64 v[246:247], -v[vgprValuA_X1_I0+4+0+0+2:vgprValuA_X1_I0+4+0+0+2+1], 0 // Ai=-Ai
v_mfma_f64_16x16x4_f64 v[8+0:15+0], v[vgprG2LB+4+0:vgprG2LB+4+0+1], v[vgprValuA_X1_I0+4+0+0:vgprValuA_X1_I0+4+0+0+1], v[8:15]
 // Cr += Ar*Br
/*  mfmaIndex:25  */
/* localReadsVacancy: latencyLeft 5 */
v_mfma_f64_16x16x4_f64 v[48+0:55+0], v[vgprG2LB+4+0:vgprG2LB+4+0+1], v[vgprValuA_X1_I0+4+0+0+2:vgprValuA_X1_I0+4+0+0+2+1], v[48:55]
 // Ci += Ai*Br
/*  mfmaIndex:26  */
/* localReadsVacancy: latencyLeft 5 */
v_mfma_f64_16x16x4_f64 v[8+0:15+0], v[vgprG2LB+4+0+2:vgprG2LB+4+0+2+1], v[246:247], v[8:15]
 // Cr += -Ai*Bi
/*  mfmaIndex:27  */
/* localReadsVacancy: latencyLeft 5 */
v_mfma_f64_16x16x4_f64 v[48+0:55+0], v[vgprG2LB+4+0+2:vgprG2LB+4+0+2+1], v[vgprValuA_X1_I0+4+0+0:vgprValuA_X1_I0+4+0+0+1], v[48:55]
 // Ci += Ar*Bi
/*  mfmaIndex:28  */
/* localReadsVacancy: latencyLeft 5 */
v_add_f64 v[246:247], -v[vgprValuA_X1_I0+8+0+0+2:vgprValuA_X1_I0+8+0+0+2+1], 0 // Ai=-Ai
v_mfma_f64_16x16x4_f64 v[16+0:23+0], v[vgprG2LB+4+0:vgprG2LB+4+0+1], v[vgprValuA_X1_I0+8+0+0:vgprValuA_X1_I0+8+0+0+1], v[16:23]
 // Cr += Ar*Br
/*  mfmaIndex:29  */
/* localReadsVacancy: latencyLeft 5 */
v_mfma_f64_16x16x4_f64 v[56+0:63+0], v[vgprG2LB+4+0:vgprG2LB+4+0+1], v[vgprValuA_X1_I0+8+0+0+2:vgprValuA_X1_I0+8+0+0+2+1], v[56:63]
 // Ci += Ai*Br
/*  mfmaIndex:30  */
/* localReadsVacancy: latencyLeft 5 */
v_mfma_f64_16x16x4_f64 v[16+0:23+0], v[vgprG2LB+4+0+2:vgprG2LB+4+0+2+1], v[246:247], v[16:23]
 // Cr += -Ai*Bi
/*  mfmaIndex:31  */
/* localReadsVacancy: latencyLeft 5 */
v_mfma_f64_16x16x4_f64 v[56+0:63+0], v[vgprG2LB+4+0+2:vgprG2LB+4+0+2+1], v[vgprValuA_X1_I0+8+0+0:vgprValuA_X1_I0+8+0+0+1], v[56:63]
 // Ci += Ar*Bi
/*  mfmaIndex:32  */
	;; [unrolled: 17-line block ×3, first 2 shown]
/* localReadsVacancy: latencyLeft 5 */
v_add_f64 v[246:247], -v[vgprValuA_X1_I0+16+0+0+2:vgprValuA_X1_I0+16+0+0+2+1], 0 // Ai=-Ai
v_mfma_f64_16x16x4_f64 v[32+0:39+0], v[vgprG2LB+4+0:vgprG2LB+4+0+1], v[vgprValuA_X1_I0+16+0+0:vgprValuA_X1_I0+16+0+0+1], v[32:39]
 // Cr += Ar*Br
/*  mfmaIndex:37  */
/* localReadsVacancy: latencyLeft 5 */
v_mfma_f64_16x16x4_f64 v[72+0:79+0], v[vgprG2LB+4+0:vgprG2LB+4+0+1], v[vgprValuA_X1_I0+16+0+0+2:vgprValuA_X1_I0+16+0+0+2+1], v[72:79]
 // Ci += Ai*Br
/*  mfmaIndex:38  */
/* localReadsVacancy: latencyLeft 5 */
v_mfma_f64_16x16x4_f64 v[32+0:39+0], v[vgprG2LB+4+0+2:vgprG2LB+4+0+2+1], v[246:247], v[32:39]
 // Cr += -Ai*Bi
/*  mfmaIndex:39  */
/* localReadsVacancy: latencyLeft 5 */
v_mfma_f64_16x16x4_f64 v[72+0:79+0], v[vgprG2LB+4+0+2:vgprG2LB+4+0+2+1], v[vgprValuA_X1_I0+16+0+0:vgprValuA_X1_I0+16+0+0+1], v[72:79]
 // Ci += Ar*Bi
/* numPrefetchIter=0 */
/* dataAtIterA=0 numReadsIterA=2 skipReadsIterA=1 readsPerIterA=5 */
/* dataAtIterB=0 numReadsIterB=2 skipReadsIterB=1 readsPerIterB=1 */


/* iter 2 */

s_waitcnt vmcnt(23)                                // lgkmcnt=-1 vmcnt=23global read wait for DirectToVgpr

/*  grEndMfmaIndex:4, lwStartMfmaIndex:131, lwEndMfmaIndex:139  */
/*  numMfmaForLR:10, barrierMfmaIndex:149, LocalWritePerMfma:1.060 */
/*  mfmaIndex:40  */
_ds_load_b128 v[vgprValuA_X1_I0+0:vgprValuA_X1_I0+0+3], v[vgprLocalReadAddrA] offset:15360 // L -> Reg lro=960 swapByteOffset=0 ti=16 vIdx=0 rIdx=0 oIdx=0 buffer=1 iui=0
s_waitcnt lgkmcnt(1)                               // lgkmcnt=0 vmcnt=-1wait for prior local read local write old=0, new=1 newLW=0 newLR=1
v_add_f64 v[246:247], -v[vgprValuA_X0_I0+0+0+0+2:vgprValuA_X0_I0+0+0+0+2+1], 0 // Ai=-Ai
v_mfma_f64_16x16x4_f64 v[0+0:7+0], v[vgprG2LB+8+0:vgprG2LB+8+0+1], v[vgprValuA_X0_I0+0+0+0:vgprValuA_X0_I0+0+0+0+1], v[0:7]
 // Cr += Ar*Br
/*  mfmaIndex:41  */
_ds_load_b128 v[vgprValuA_X1_I0+4:vgprValuA_X1_I0+4+3], v[vgprLocalReadAddrA] offset:15616 // L -> Reg lro=960 swapByteOffset=0 ti=16 vIdx=1 rIdx=0 oIdx=0 buffer=1 iui=0
v_mfma_f64_16x16x4_f64 v[40+0:47+0], v[vgprG2LB+8+0:vgprG2LB+8+0+1], v[vgprValuA_X0_I0+0+0+0+2:vgprValuA_X0_I0+0+0+0+2+1], v[40:47]
 // Ci += Ai*Br
/*  mfmaIndex:42  */
_ds_load_b128 v[vgprValuA_X1_I0+8:vgprValuA_X1_I0+8+3], v[vgprLocalReadAddrA] offset:15872 // L -> Reg lro=960 swapByteOffset=0 ti=16 vIdx=2 rIdx=0 oIdx=0 buffer=1 iui=0
v_mfma_f64_16x16x4_f64 v[0+0:7+0], v[vgprG2LB+8+0+2:vgprG2LB+8+0+2+1], v[246:247], v[0:7]
 // Cr += -Ai*Bi
/*  mfmaIndex:43  */
_ds_load_b128 v[vgprValuA_X1_I0+12:vgprValuA_X1_I0+12+3], v[vgprLocalReadAddrA] offset:16128 // L -> Reg lro=960 swapByteOffset=0 ti=16 vIdx=3 rIdx=0 oIdx=0 buffer=1 iui=0
v_mfma_f64_16x16x4_f64 v[40+0:47+0], v[vgprG2LB+8+0+2:vgprG2LB+8+0+2+1], v[vgprValuA_X0_I0+0+0+0:vgprValuA_X0_I0+0+0+0+1], v[40:47]
 // Ci += Ar*Bi
/*  mfmaIndex:44  */
_ds_load_b128 v[vgprValuA_X1_I0+16:vgprValuA_X1_I0+16+3], v[vgprLocalReadAddrA] offset:16384 // L -> Reg lro=960 swapByteOffset=0 ti=16 vIdx=4 rIdx=0 oIdx=0 buffer=1 iui=0
/* localReadsVacancy: latencyLeft 1 */
v_add_f64 v[246:247], -v[vgprValuA_X0_I0+4+0+0+2:vgprValuA_X0_I0+4+0+0+2+1], 0 // Ai=-Ai
v_mfma_f64_16x16x4_f64 v[8+0:15+0], v[vgprG2LB+8+0:vgprG2LB+8+0+1], v[vgprValuA_X0_I0+4+0+0:vgprValuA_X0_I0+4+0+0+1], v[8:15]
 // Cr += Ar*Br
/*  mfmaIndex:45  */
/* localReadsVacancy: latencyLeft 5 */
v_mfma_f64_16x16x4_f64 v[48+0:55+0], v[vgprG2LB+8+0:vgprG2LB+8+0+1], v[vgprValuA_X0_I0+4+0+0+2:vgprValuA_X0_I0+4+0+0+2+1], v[48:55]
 // Ci += Ai*Br
/*  mfmaIndex:46  */
/* localReadsVacancy: latencyLeft 5 */
v_mfma_f64_16x16x4_f64 v[8+0:15+0], v[vgprG2LB+8+0+2:vgprG2LB+8+0+2+1], v[246:247], v[8:15]
 // Cr += -Ai*Bi
/*  mfmaIndex:47  */
/* localReadsVacancy: latencyLeft 5 */
v_mfma_f64_16x16x4_f64 v[48+0:55+0], v[vgprG2LB+8+0+2:vgprG2LB+8+0+2+1], v[vgprValuA_X0_I0+4+0+0:vgprValuA_X0_I0+4+0+0+1], v[48:55]
 // Ci += Ar*Bi
/*  mfmaIndex:48  */
/* localReadsVacancy: latencyLeft 5 */
v_add_f64 v[246:247], -v[vgprValuA_X0_I0+8+0+0+2:vgprValuA_X0_I0+8+0+0+2+1], 0 // Ai=-Ai
v_mfma_f64_16x16x4_f64 v[16+0:23+0], v[vgprG2LB+8+0:vgprG2LB+8+0+1], v[vgprValuA_X0_I0+8+0+0:vgprValuA_X0_I0+8+0+0+1], v[16:23]
 // Cr += Ar*Br
/*  mfmaIndex:49  */
/* localReadsVacancy: latencyLeft 5 */
v_mfma_f64_16x16x4_f64 v[56+0:63+0], v[vgprG2LB+8+0:vgprG2LB+8+0+1], v[vgprValuA_X0_I0+8+0+0+2:vgprValuA_X0_I0+8+0+0+2+1], v[56:63]
 // Ci += Ai*Br
/*  mfmaIndex:50  */
/* localReadsVacancy: latencyLeft 5 */
v_mfma_f64_16x16x4_f64 v[16+0:23+0], v[vgprG2LB+8+0+2:vgprG2LB+8+0+2+1], v[246:247], v[16:23]
 // Cr += -Ai*Bi
/*  mfmaIndex:51  */
/* localReadsVacancy: latencyLeft 5 */
v_mfma_f64_16x16x4_f64 v[56+0:63+0], v[vgprG2LB+8+0+2:vgprG2LB+8+0+2+1], v[vgprValuA_X0_I0+8+0+0:vgprValuA_X0_I0+8+0+0+1], v[56:63]
 // Ci += Ar*Bi
/*  mfmaIndex:52  */
	;; [unrolled: 17-line block ×3, first 2 shown]
/* localReadsVacancy: latencyLeft 5 */
v_add_f64 v[246:247], -v[vgprValuA_X0_I0+16+0+0+2:vgprValuA_X0_I0+16+0+0+2+1], 0 // Ai=-Ai
v_mfma_f64_16x16x4_f64 v[32+0:39+0], v[vgprG2LB+8+0:vgprG2LB+8+0+1], v[vgprValuA_X0_I0+16+0+0:vgprValuA_X0_I0+16+0+0+1], v[32:39]
 // Cr += Ar*Br
/*  mfmaIndex:57  */
/* localReadsVacancy: latencyLeft 5 */
v_mfma_f64_16x16x4_f64 v[72+0:79+0], v[vgprG2LB+8+0:vgprG2LB+8+0+1], v[vgprValuA_X0_I0+16+0+0+2:vgprValuA_X0_I0+16+0+0+2+1], v[72:79]
 // Ci += Ai*Br
/*  mfmaIndex:58  */
/* localReadsVacancy: latencyLeft 5 */
v_mfma_f64_16x16x4_f64 v[32+0:39+0], v[vgprG2LB+8+0+2:vgprG2LB+8+0+2+1], v[246:247], v[32:39]
 // Cr += -Ai*Bi
/*  mfmaIndex:59  */
/* localReadsVacancy: latencyLeft 5 */
v_mfma_f64_16x16x4_f64 v[72+0:79+0], v[vgprG2LB+8+0+2:vgprG2LB+8+0+2+1], v[vgprValuA_X0_I0+16+0+0:vgprValuA_X0_I0+16+0+0+1], v[72:79]
 // Ci += Ar*Bi
/* numPrefetchIter=0 */
/* dataAtIterA=1 numReadsIterA=3 skipReadsIterA=1 readsPerIterA=5 */
/* dataAtIterB=1 numReadsIterB=3 skipReadsIterB=1 readsPerIterB=1 */


/* iter 3 */

s_waitcnt vmcnt(22)                                // lgkmcnt=-1 vmcnt=22global read wait for DirectToVgpr

/*  grEndMfmaIndex:4, lwStartMfmaIndex:131, lwEndMfmaIndex:139  */
/*  numMfmaForLR:10, barrierMfmaIndex:149, LocalWritePerMfma:1.060 */
/*  mfmaIndex:60  */
_ds_load_b128 v[vgprValuA_X0_I0+0:vgprValuA_X0_I0+0+3], v[vgprLocalReadAddrA] offset:20480 // L -> Reg lro=1280 swapByteOffset=0 ti=16 vIdx=0 rIdx=0 oIdx=0 buffer=0 iui=0
s_waitcnt lgkmcnt(1)                               // lgkmcnt=0 vmcnt=-1wait for prior local read local write old=0, new=1 newLW=0 newLR=1
v_add_f64 v[246:247], -v[vgprValuA_X1_I0+0+0+0+2:vgprValuA_X1_I0+0+0+0+2+1], 0 // Ai=-Ai
v_mfma_f64_16x16x4_f64 v[0+0:7+0], v[vgprG2LB+12+0:vgprG2LB+12+0+1], v[vgprValuA_X1_I0+0+0+0:vgprValuA_X1_I0+0+0+0+1], v[0:7]
 // Cr += Ar*Br
/*  mfmaIndex:61  */
_ds_load_b128 v[vgprValuA_X0_I0+4:vgprValuA_X0_I0+4+3], v[vgprLocalReadAddrA] offset:20736 // L -> Reg lro=1280 swapByteOffset=0 ti=16 vIdx=1 rIdx=0 oIdx=0 buffer=0 iui=0
v_mfma_f64_16x16x4_f64 v[40+0:47+0], v[vgprG2LB+12+0:vgprG2LB+12+0+1], v[vgprValuA_X1_I0+0+0+0+2:vgprValuA_X1_I0+0+0+0+2+1], v[40:47]
 // Ci += Ai*Br
/*  mfmaIndex:62  */
_ds_load_b128 v[vgprValuA_X0_I0+8:vgprValuA_X0_I0+8+3], v[vgprLocalReadAddrA] offset:20992 // L -> Reg lro=1280 swapByteOffset=0 ti=16 vIdx=2 rIdx=0 oIdx=0 buffer=0 iui=0
v_mfma_f64_16x16x4_f64 v[0+0:7+0], v[vgprG2LB+12+0+2:vgprG2LB+12+0+2+1], v[246:247], v[0:7]
 // Cr += -Ai*Bi
/*  mfmaIndex:63  */
_ds_load_b128 v[vgprValuA_X0_I0+12:vgprValuA_X0_I0+12+3], v[vgprLocalReadAddrA] offset:21248 // L -> Reg lro=1280 swapByteOffset=0 ti=16 vIdx=3 rIdx=0 oIdx=0 buffer=0 iui=0
v_mfma_f64_16x16x4_f64 v[40+0:47+0], v[vgprG2LB+12+0+2:vgprG2LB+12+0+2+1], v[vgprValuA_X1_I0+0+0+0:vgprValuA_X1_I0+0+0+0+1], v[40:47]
 // Ci += Ar*Bi
/*  mfmaIndex:64  */
_ds_load_b128 v[vgprValuA_X0_I0+16:vgprValuA_X0_I0+16+3], v[vgprLocalReadAddrA] offset:21504 // L -> Reg lro=1280 swapByteOffset=0 ti=16 vIdx=4 rIdx=0 oIdx=0 buffer=0 iui=0
/* localReadsVacancy: latencyLeft 1 */
v_add_f64 v[246:247], -v[vgprValuA_X1_I0+4+0+0+2:vgprValuA_X1_I0+4+0+0+2+1], 0 // Ai=-Ai
v_mfma_f64_16x16x4_f64 v[8+0:15+0], v[vgprG2LB+12+0:vgprG2LB+12+0+1], v[vgprValuA_X1_I0+4+0+0:vgprValuA_X1_I0+4+0+0+1], v[8:15]
 // Cr += Ar*Br
/*  mfmaIndex:65  */
/* localReadsVacancy: latencyLeft 5 */
v_mfma_f64_16x16x4_f64 v[48+0:55+0], v[vgprG2LB+12+0:vgprG2LB+12+0+1], v[vgprValuA_X1_I0+4+0+0+2:vgprValuA_X1_I0+4+0+0+2+1], v[48:55]
 // Ci += Ai*Br
/*  mfmaIndex:66  */
/* localReadsVacancy: latencyLeft 5 */
v_mfma_f64_16x16x4_f64 v[8+0:15+0], v[vgprG2LB+12+0+2:vgprG2LB+12+0+2+1], v[246:247], v[8:15]
 // Cr += -Ai*Bi
/*  mfmaIndex:67  */
/* localReadsVacancy: latencyLeft 5 */
v_mfma_f64_16x16x4_f64 v[48+0:55+0], v[vgprG2LB+12+0+2:vgprG2LB+12+0+2+1], v[vgprValuA_X1_I0+4+0+0:vgprValuA_X1_I0+4+0+0+1], v[48:55]
 // Ci += Ar*Bi
/*  mfmaIndex:68  */
/* localReadsVacancy: latencyLeft 5 */
v_add_f64 v[246:247], -v[vgprValuA_X1_I0+8+0+0+2:vgprValuA_X1_I0+8+0+0+2+1], 0 // Ai=-Ai
v_mfma_f64_16x16x4_f64 v[16+0:23+0], v[vgprG2LB+12+0:vgprG2LB+12+0+1], v[vgprValuA_X1_I0+8+0+0:vgprValuA_X1_I0+8+0+0+1], v[16:23]
 // Cr += Ar*Br
/*  mfmaIndex:69  */
/* localReadsVacancy: latencyLeft 5 */
v_mfma_f64_16x16x4_f64 v[56+0:63+0], v[vgprG2LB+12+0:vgprG2LB+12+0+1], v[vgprValuA_X1_I0+8+0+0+2:vgprValuA_X1_I0+8+0+0+2+1], v[56:63]
 // Ci += Ai*Br
/*  mfmaIndex:70  */
/* localReadsVacancy: latencyLeft 5 */
v_mfma_f64_16x16x4_f64 v[16+0:23+0], v[vgprG2LB+12+0+2:vgprG2LB+12+0+2+1], v[246:247], v[16:23]
 // Cr += -Ai*Bi
/*  mfmaIndex:71  */
/* localReadsVacancy: latencyLeft 5 */
v_mfma_f64_16x16x4_f64 v[56+0:63+0], v[vgprG2LB+12+0+2:vgprG2LB+12+0+2+1], v[vgprValuA_X1_I0+8+0+0:vgprValuA_X1_I0+8+0+0+1], v[56:63]
 // Ci += Ar*Bi
/*  mfmaIndex:72  */
	;; [unrolled: 17-line block ×3, first 2 shown]
/* localReadsVacancy: latencyLeft 5 */
v_add_f64 v[246:247], -v[vgprValuA_X1_I0+16+0+0+2:vgprValuA_X1_I0+16+0+0+2+1], 0 // Ai=-Ai
v_mfma_f64_16x16x4_f64 v[32+0:39+0], v[vgprG2LB+12+0:vgprG2LB+12+0+1], v[vgprValuA_X1_I0+16+0+0:vgprValuA_X1_I0+16+0+0+1], v[32:39]
 // Cr += Ar*Br
/*  mfmaIndex:77  */
/* localReadsVacancy: latencyLeft 5 */
v_mfma_f64_16x16x4_f64 v[72+0:79+0], v[vgprG2LB+12+0:vgprG2LB+12+0+1], v[vgprValuA_X1_I0+16+0+0+2:vgprValuA_X1_I0+16+0+0+2+1], v[72:79]
 // Ci += Ai*Br
/*  mfmaIndex:78  */
/* localReadsVacancy: latencyLeft 5 */
v_mfma_f64_16x16x4_f64 v[32+0:39+0], v[vgprG2LB+12+0+2:vgprG2LB+12+0+2+1], v[246:247], v[32:39]
 // Cr += -Ai*Bi
/*  mfmaIndex:79  */
/* localReadsVacancy: latencyLeft 5 */
v_mfma_f64_16x16x4_f64 v[72+0:79+0], v[vgprG2LB+12+0+2:vgprG2LB+12+0+2+1], v[vgprValuA_X1_I0+16+0+0:vgprValuA_X1_I0+16+0+0+1], v[72:79]
 // Ci += Ar*Bi
/* numPrefetchIter=0 */
/* dataAtIterA=2 numReadsIterA=4 skipReadsIterA=1 readsPerIterA=5 */
/* dataAtIterB=2 numReadsIterB=4 skipReadsIterB=1 readsPerIterB=1 */


/* iter 4 */

s_waitcnt vmcnt(21)                                // lgkmcnt=-1 vmcnt=21global read wait for DirectToVgpr

/*  grEndMfmaIndex:4, lwStartMfmaIndex:131, lwEndMfmaIndex:139  */
/*  numMfmaForLR:10, barrierMfmaIndex:149, LocalWritePerMfma:1.060 */
/*  mfmaIndex:80  */
_ds_load_b128 v[vgprValuA_X1_I0+0:vgprValuA_X1_I0+0+3], v[vgprLocalReadAddrA] offset:25600 // L -> Reg lro=1600 swapByteOffset=0 ti=16 vIdx=0 rIdx=0 oIdx=0 buffer=1 iui=0
s_waitcnt lgkmcnt(1)                               // lgkmcnt=0 vmcnt=-1wait for prior local read local write old=0, new=1 newLW=0 newLR=1
v_add_f64 v[246:247], -v[vgprValuA_X0_I0+0+0+0+2:vgprValuA_X0_I0+0+0+0+2+1], 0 // Ai=-Ai
v_mfma_f64_16x16x4_f64 v[0+0:7+0], v[vgprG2LB+16+0:vgprG2LB+16+0+1], v[vgprValuA_X0_I0+0+0+0:vgprValuA_X0_I0+0+0+0+1], v[0:7]
 // Cr += Ar*Br
/*  mfmaIndex:81  */
_ds_load_b128 v[vgprValuA_X1_I0+4:vgprValuA_X1_I0+4+3], v[vgprLocalReadAddrA] offset:25856 // L -> Reg lro=1600 swapByteOffset=0 ti=16 vIdx=1 rIdx=0 oIdx=0 buffer=1 iui=0
v_mfma_f64_16x16x4_f64 v[40+0:47+0], v[vgprG2LB+16+0:vgprG2LB+16+0+1], v[vgprValuA_X0_I0+0+0+0+2:vgprValuA_X0_I0+0+0+0+2+1], v[40:47]
 // Ci += Ai*Br
/*  mfmaIndex:82  */
_ds_load_b128 v[vgprValuA_X1_I0+8:vgprValuA_X1_I0+8+3], v[vgprLocalReadAddrA] offset:26112 // L -> Reg lro=1600 swapByteOffset=0 ti=16 vIdx=2 rIdx=0 oIdx=0 buffer=1 iui=0
v_mfma_f64_16x16x4_f64 v[0+0:7+0], v[vgprG2LB+16+0+2:vgprG2LB+16+0+2+1], v[246:247], v[0:7]
 // Cr += -Ai*Bi
/*  mfmaIndex:83  */
_ds_load_b128 v[vgprValuA_X1_I0+12:vgprValuA_X1_I0+12+3], v[vgprLocalReadAddrA] offset:26368 // L -> Reg lro=1600 swapByteOffset=0 ti=16 vIdx=3 rIdx=0 oIdx=0 buffer=1 iui=0
v_mfma_f64_16x16x4_f64 v[40+0:47+0], v[vgprG2LB+16+0+2:vgprG2LB+16+0+2+1], v[vgprValuA_X0_I0+0+0+0:vgprValuA_X0_I0+0+0+0+1], v[40:47]
 // Ci += Ar*Bi
/*  mfmaIndex:84  */
_ds_load_b128 v[vgprValuA_X1_I0+16:vgprValuA_X1_I0+16+3], v[vgprLocalReadAddrA] offset:26624 // L -> Reg lro=1600 swapByteOffset=0 ti=16 vIdx=4 rIdx=0 oIdx=0 buffer=1 iui=0
/* localReadsVacancy: latencyLeft 1 */
v_add_f64 v[246:247], -v[vgprValuA_X0_I0+4+0+0+2:vgprValuA_X0_I0+4+0+0+2+1], 0 // Ai=-Ai
v_mfma_f64_16x16x4_f64 v[8+0:15+0], v[vgprG2LB+16+0:vgprG2LB+16+0+1], v[vgprValuA_X0_I0+4+0+0:vgprValuA_X0_I0+4+0+0+1], v[8:15]
 // Cr += Ar*Br
/*  mfmaIndex:85  */
/* localReadsVacancy: latencyLeft 5 */
v_mfma_f64_16x16x4_f64 v[48+0:55+0], v[vgprG2LB+16+0:vgprG2LB+16+0+1], v[vgprValuA_X0_I0+4+0+0+2:vgprValuA_X0_I0+4+0+0+2+1], v[48:55]
 // Ci += Ai*Br
/*  mfmaIndex:86  */
/* localReadsVacancy: latencyLeft 5 */
v_mfma_f64_16x16x4_f64 v[8+0:15+0], v[vgprG2LB+16+0+2:vgprG2LB+16+0+2+1], v[246:247], v[8:15]
 // Cr += -Ai*Bi
/*  mfmaIndex:87  */
/* localReadsVacancy: latencyLeft 5 */
v_mfma_f64_16x16x4_f64 v[48+0:55+0], v[vgprG2LB+16+0+2:vgprG2LB+16+0+2+1], v[vgprValuA_X0_I0+4+0+0:vgprValuA_X0_I0+4+0+0+1], v[48:55]
 // Ci += Ar*Bi
/*  mfmaIndex:88  */
/* localReadsVacancy: latencyLeft 5 */
v_add_f64 v[246:247], -v[vgprValuA_X0_I0+8+0+0+2:vgprValuA_X0_I0+8+0+0+2+1], 0 // Ai=-Ai
v_mfma_f64_16x16x4_f64 v[16+0:23+0], v[vgprG2LB+16+0:vgprG2LB+16+0+1], v[vgprValuA_X0_I0+8+0+0:vgprValuA_X0_I0+8+0+0+1], v[16:23]
 // Cr += Ar*Br
/*  mfmaIndex:89  */
/* localReadsVacancy: latencyLeft 5 */
v_mfma_f64_16x16x4_f64 v[56+0:63+0], v[vgprG2LB+16+0:vgprG2LB+16+0+1], v[vgprValuA_X0_I0+8+0+0+2:vgprValuA_X0_I0+8+0+0+2+1], v[56:63]
 // Ci += Ai*Br
/*  mfmaIndex:90  */
/* localReadsVacancy: latencyLeft 5 */
v_mfma_f64_16x16x4_f64 v[16+0:23+0], v[vgprG2LB+16+0+2:vgprG2LB+16+0+2+1], v[246:247], v[16:23]
 // Cr += -Ai*Bi
/*  mfmaIndex:91  */
/* localReadsVacancy: latencyLeft 5 */
v_mfma_f64_16x16x4_f64 v[56+0:63+0], v[vgprG2LB+16+0+2:vgprG2LB+16+0+2+1], v[vgprValuA_X0_I0+8+0+0:vgprValuA_X0_I0+8+0+0+1], v[56:63]
 // Ci += Ar*Bi
/*  mfmaIndex:92  */
	;; [unrolled: 17-line block ×3, first 2 shown]
/* localReadsVacancy: latencyLeft 5 */
v_add_f64 v[246:247], -v[vgprValuA_X0_I0+16+0+0+2:vgprValuA_X0_I0+16+0+0+2+1], 0 // Ai=-Ai
v_mfma_f64_16x16x4_f64 v[32+0:39+0], v[vgprG2LB+16+0:vgprG2LB+16+0+1], v[vgprValuA_X0_I0+16+0+0:vgprValuA_X0_I0+16+0+0+1], v[32:39]
 // Cr += Ar*Br
/*  mfmaIndex:97  */
/* localReadsVacancy: latencyLeft 5 */
v_mfma_f64_16x16x4_f64 v[72+0:79+0], v[vgprG2LB+16+0:vgprG2LB+16+0+1], v[vgprValuA_X0_I0+16+0+0+2:vgprValuA_X0_I0+16+0+0+2+1], v[72:79]
 // Ci += Ai*Br
/*  mfmaIndex:98  */
/* localReadsVacancy: latencyLeft 5 */
v_mfma_f64_16x16x4_f64 v[32+0:39+0], v[vgprG2LB+16+0+2:vgprG2LB+16+0+2+1], v[246:247], v[32:39]
 // Cr += -Ai*Bi
/*  mfmaIndex:99  */
/* localReadsVacancy: latencyLeft 5 */
v_mfma_f64_16x16x4_f64 v[72+0:79+0], v[vgprG2LB+16+0+2:vgprG2LB+16+0+2+1], v[vgprValuA_X0_I0+16+0+0:vgprValuA_X0_I0+16+0+0+1], v[72:79]
 // Ci += Ar*Bi
/* numPrefetchIter=0 */
/* dataAtIterA=3 numReadsIterA=5 skipReadsIterA=1 readsPerIterA=5 */
/* dataAtIterB=3 numReadsIterB=5 skipReadsIterB=1 readsPerIterB=1 */


/* iter 5 */

s_waitcnt vmcnt(20)                                // lgkmcnt=-1 vmcnt=20global read wait for DirectToVgpr

/*  grEndMfmaIndex:4, lwStartMfmaIndex:131, lwEndMfmaIndex:139  */
/*  numMfmaForLR:10, barrierMfmaIndex:149, LocalWritePerMfma:1.060 */
/*  mfmaIndex:100  */
_ds_load_b128 v[vgprValuA_X0_I0+0:vgprValuA_X0_I0+0+3], v[vgprLocalReadAddrA] offset:30720 // L -> Reg lro=1920 swapByteOffset=0 ti=16 vIdx=0 rIdx=0 oIdx=0 buffer=0 iui=0
s_waitcnt lgkmcnt(1)                               // lgkmcnt=0 vmcnt=-1wait for prior local read local write old=0, new=1 newLW=0 newLR=1
v_add_f64 v[246:247], -v[vgprValuA_X1_I0+0+0+0+2:vgprValuA_X1_I0+0+0+0+2+1], 0 // Ai=-Ai
v_mfma_f64_16x16x4_f64 v[0+0:7+0], v[vgprG2LB+20+0:vgprG2LB+20+0+1], v[vgprValuA_X1_I0+0+0+0:vgprValuA_X1_I0+0+0+0+1], v[0:7]
 // Cr += Ar*Br
/*  mfmaIndex:101  */
_ds_load_b128 v[vgprValuA_X0_I0+4:vgprValuA_X0_I0+4+3], v[vgprLocalReadAddrA] offset:30976 // L -> Reg lro=1920 swapByteOffset=0 ti=16 vIdx=1 rIdx=0 oIdx=0 buffer=0 iui=0
v_mfma_f64_16x16x4_f64 v[40+0:47+0], v[vgprG2LB+20+0:vgprG2LB+20+0+1], v[vgprValuA_X1_I0+0+0+0+2:vgprValuA_X1_I0+0+0+0+2+1], v[40:47]
 // Ci += Ai*Br
/*  mfmaIndex:102  */
_ds_load_b128 v[vgprValuA_X0_I0+8:vgprValuA_X0_I0+8+3], v[vgprLocalReadAddrA] offset:31232 // L -> Reg lro=1920 swapByteOffset=0 ti=16 vIdx=2 rIdx=0 oIdx=0 buffer=0 iui=0
v_mfma_f64_16x16x4_f64 v[0+0:7+0], v[vgprG2LB+20+0+2:vgprG2LB+20+0+2+1], v[246:247], v[0:7]
 // Cr += -Ai*Bi
/*  mfmaIndex:103  */
_ds_load_b128 v[vgprValuA_X0_I0+12:vgprValuA_X0_I0+12+3], v[vgprLocalReadAddrA] offset:31488 // L -> Reg lro=1920 swapByteOffset=0 ti=16 vIdx=3 rIdx=0 oIdx=0 buffer=0 iui=0
v_mfma_f64_16x16x4_f64 v[40+0:47+0], v[vgprG2LB+20+0+2:vgprG2LB+20+0+2+1], v[vgprValuA_X1_I0+0+0+0:vgprValuA_X1_I0+0+0+0+1], v[40:47]
 // Ci += Ar*Bi
/*  mfmaIndex:104  */
_ds_load_b128 v[vgprValuA_X0_I0+16:vgprValuA_X0_I0+16+3], v[vgprLocalReadAddrA] offset:31744 // L -> Reg lro=1920 swapByteOffset=0 ti=16 vIdx=4 rIdx=0 oIdx=0 buffer=0 iui=0
/* localReadsVacancy: latencyLeft 1 */
v_add_f64 v[246:247], -v[vgprValuA_X1_I0+4+0+0+2:vgprValuA_X1_I0+4+0+0+2+1], 0 // Ai=-Ai
v_mfma_f64_16x16x4_f64 v[8+0:15+0], v[vgprG2LB+20+0:vgprG2LB+20+0+1], v[vgprValuA_X1_I0+4+0+0:vgprValuA_X1_I0+4+0+0+1], v[8:15]
 // Cr += Ar*Br
/*  mfmaIndex:105  */
/* localReadsVacancy: latencyLeft 5 */
v_mfma_f64_16x16x4_f64 v[48+0:55+0], v[vgprG2LB+20+0:vgprG2LB+20+0+1], v[vgprValuA_X1_I0+4+0+0+2:vgprValuA_X1_I0+4+0+0+2+1], v[48:55]
 // Ci += Ai*Br
/*  mfmaIndex:106  */
/* localReadsVacancy: latencyLeft 5 */
v_mfma_f64_16x16x4_f64 v[8+0:15+0], v[vgprG2LB+20+0+2:vgprG2LB+20+0+2+1], v[246:247], v[8:15]
 // Cr += -Ai*Bi
/*  mfmaIndex:107  */
/* localReadsVacancy: latencyLeft 5 */
v_mfma_f64_16x16x4_f64 v[48+0:55+0], v[vgprG2LB+20+0+2:vgprG2LB+20+0+2+1], v[vgprValuA_X1_I0+4+0+0:vgprValuA_X1_I0+4+0+0+1], v[48:55]
 // Ci += Ar*Bi
/*  mfmaIndex:108  */
/* localReadsVacancy: latencyLeft 5 */
v_add_f64 v[246:247], -v[vgprValuA_X1_I0+8+0+0+2:vgprValuA_X1_I0+8+0+0+2+1], 0 // Ai=-Ai
v_mfma_f64_16x16x4_f64 v[16+0:23+0], v[vgprG2LB+20+0:vgprG2LB+20+0+1], v[vgprValuA_X1_I0+8+0+0:vgprValuA_X1_I0+8+0+0+1], v[16:23]
 // Cr += Ar*Br
/*  mfmaIndex:109  */
/* localReadsVacancy: latencyLeft 5 */
v_mfma_f64_16x16x4_f64 v[56+0:63+0], v[vgprG2LB+20+0:vgprG2LB+20+0+1], v[vgprValuA_X1_I0+8+0+0+2:vgprValuA_X1_I0+8+0+0+2+1], v[56:63]
 // Ci += Ai*Br
/*  mfmaIndex:110  */
/* localReadsVacancy: latencyLeft 5 */
v_mfma_f64_16x16x4_f64 v[16+0:23+0], v[vgprG2LB+20+0+2:vgprG2LB+20+0+2+1], v[246:247], v[16:23]
 // Cr += -Ai*Bi
/*  mfmaIndex:111  */
/* localReadsVacancy: latencyLeft 5 */
v_mfma_f64_16x16x4_f64 v[56+0:63+0], v[vgprG2LB+20+0+2:vgprG2LB+20+0+2+1], v[vgprValuA_X1_I0+8+0+0:vgprValuA_X1_I0+8+0+0+1], v[56:63]
 // Ci += Ar*Bi
/*  mfmaIndex:112  */
	;; [unrolled: 17-line block ×3, first 2 shown]
/* localReadsVacancy: latencyLeft 5 */
v_add_f64 v[246:247], -v[vgprValuA_X1_I0+16+0+0+2:vgprValuA_X1_I0+16+0+0+2+1], 0 // Ai=-Ai
v_mfma_f64_16x16x4_f64 v[32+0:39+0], v[vgprG2LB+20+0:vgprG2LB+20+0+1], v[vgprValuA_X1_I0+16+0+0:vgprValuA_X1_I0+16+0+0+1], v[32:39]
 // Cr += Ar*Br
/*  mfmaIndex:117  */
/* localReadsVacancy: latencyLeft 5 */
v_mfma_f64_16x16x4_f64 v[72+0:79+0], v[vgprG2LB+20+0:vgprG2LB+20+0+1], v[vgprValuA_X1_I0+16+0+0+2:vgprValuA_X1_I0+16+0+0+2+1], v[72:79]
 // Ci += Ai*Br
/*  mfmaIndex:118  */
/* localReadsVacancy: latencyLeft 5 */
v_mfma_f64_16x16x4_f64 v[32+0:39+0], v[vgprG2LB+20+0+2:vgprG2LB+20+0+2+1], v[246:247], v[32:39]
 // Cr += -Ai*Bi
/*  mfmaIndex:119  */
/* localReadsVacancy: latencyLeft 5 */
v_mfma_f64_16x16x4_f64 v[72+0:79+0], v[vgprG2LB+20+0+2:vgprG2LB+20+0+2+1], v[vgprValuA_X1_I0+16+0+0:vgprValuA_X1_I0+16+0+0+1], v[72:79]
 // Ci += Ar*Bi
/* numPrefetchIter=0 */
/* dataAtIterA=4 numReadsIterA=6 skipReadsIterA=1 readsPerIterA=5 */
/* dataAtIterB=4 numReadsIterB=6 skipReadsIterB=1 readsPerIterB=1 */


/* iter 6 (reset local read pointers iteration)  (swap and reset local write pointers iteration)  (swap local read pointers iteration)  */

s_waitcnt vmcnt(19)                                // lgkmcnt=-1 vmcnt=19global read wait for DirectToVgpr

/*  grEndMfmaIndex:4, lwStartMfmaIndex:131, lwEndMfmaIndex:139  */
/*  numMfmaForLR:10, barrierMfmaIndex:149, LocalWritePerMfma:1.060 */
/*  mfmaIndex:120  */
_ds_load_b128 v[vgprValuA_X1_I0+0:vgprValuA_X1_I0+0+3], v[vgprLocalReadAddrA] offset:35840 // L -> Reg lro=2240 swapByteOffset=0 ti=16 vIdx=0 rIdx=0 oIdx=0 buffer=1 iui=0
s_waitcnt lgkmcnt(1)                               // lgkmcnt=0 vmcnt=-1wait for prior local read local write old=0, new=1 newLW=0 newLR=1
v_add_f64 v[246:247], -v[vgprValuA_X0_I0+0+0+0+2:vgprValuA_X0_I0+0+0+0+2+1], 0 // Ai=-Ai
v_mfma_f64_16x16x4_f64 v[0+0:7+0], v[vgprG2LB+24+0:vgprG2LB+24+0+1], v[vgprValuA_X0_I0+0+0+0:vgprValuA_X0_I0+0+0+0+1], v[0:7]
 // Cr += Ar*Br
/*  mfmaIndex:121  */
_ds_load_b128 v[vgprValuA_X1_I0+4:vgprValuA_X1_I0+4+3], v[vgprLocalReadAddrA] offset:36096 // L -> Reg lro=2240 swapByteOffset=0 ti=16 vIdx=1 rIdx=0 oIdx=0 buffer=1 iui=0
v_mfma_f64_16x16x4_f64 v[40+0:47+0], v[vgprG2LB+24+0:vgprG2LB+24+0+1], v[vgprValuA_X0_I0+0+0+0+2:vgprValuA_X0_I0+0+0+0+2+1], v[40:47]
 // Ci += Ai*Br
/*  mfmaIndex:122  */
_ds_load_b128 v[vgprValuA_X1_I0+8:vgprValuA_X1_I0+8+3], v[vgprLocalReadAddrA] offset:36352 // L -> Reg lro=2240 swapByteOffset=0 ti=16 vIdx=2 rIdx=0 oIdx=0 buffer=1 iui=0
v_mfma_f64_16x16x4_f64 v[0+0:7+0], v[vgprG2LB+24+0+2:vgprG2LB+24+0+2+1], v[246:247], v[0:7]
 // Cr += -Ai*Bi
/*  mfmaIndex:123  */
_ds_load_b128 v[vgprValuA_X1_I0+12:vgprValuA_X1_I0+12+3], v[vgprLocalReadAddrA] offset:36608 // L -> Reg lro=2240 swapByteOffset=0 ti=16 vIdx=3 rIdx=0 oIdx=0 buffer=1 iui=0
v_mfma_f64_16x16x4_f64 v[40+0:47+0], v[vgprG2LB+24+0+2:vgprG2LB+24+0+2+1], v[vgprValuA_X0_I0+0+0+0:vgprValuA_X0_I0+0+0+0+1], v[40:47]
 // Ci += Ar*Bi
/*  mfmaIndex:124  */
_ds_load_b128 v[vgprValuA_X1_I0+16:vgprValuA_X1_I0+16+3], v[vgprLocalReadAddrA] offset:36864 // L -> Reg lro=2240 swapByteOffset=0 ti=16 vIdx=4 rIdx=0 oIdx=0 buffer=1 iui=0
/* localReadsVacancy: latencyLeft 1 */
v_add_f64 v[246:247], -v[vgprValuA_X0_I0+4+0+0+2:vgprValuA_X0_I0+4+0+0+2+1], 0 // Ai=-Ai
v_mfma_f64_16x16x4_f64 v[8+0:15+0], v[vgprG2LB+24+0:vgprG2LB+24+0+1], v[vgprValuA_X0_I0+4+0+0:vgprValuA_X0_I0+4+0+0+1], v[8:15]
 // Cr += Ar*Br
/*  mfmaIndex:125  */
/* localReadsVacancy: latencyLeft 5 */
v_mfma_f64_16x16x4_f64 v[48+0:55+0], v[vgprG2LB+24+0:vgprG2LB+24+0+1], v[vgprValuA_X0_I0+4+0+0+2:vgprValuA_X0_I0+4+0+0+2+1], v[48:55]
 // Ci += Ai*Br
/*  mfmaIndex:126  */
/* localReadsVacancy: latencyLeft 5 */
v_mfma_f64_16x16x4_f64 v[8+0:15+0], v[vgprG2LB+24+0+2:vgprG2LB+24+0+2+1], v[246:247], v[8:15]
 // Cr += -Ai*Bi
/*  mfmaIndex:127  */
/* localReadsVacancy: latencyLeft 5 */
v_mfma_f64_16x16x4_f64 v[48+0:55+0], v[vgprG2LB+24+0+2:vgprG2LB+24+0+2+1], v[vgprValuA_X0_I0+4+0+0:vgprValuA_X0_I0+4+0+0+1], v[48:55]
 // Ci += Ar*Bi
/*  mfmaIndex:128  */
/* localReadsVacancy: latencyLeft 5 */
v_add_f64 v[246:247], -v[vgprValuA_X0_I0+8+0+0+2:vgprValuA_X0_I0+8+0+0+2+1], 0 // Ai=-Ai
v_mfma_f64_16x16x4_f64 v[16+0:23+0], v[vgprG2LB+24+0:vgprG2LB+24+0+1], v[vgprValuA_X0_I0+8+0+0:vgprValuA_X0_I0+8+0+0+1], v[16:23]
 // Cr += Ar*Br
/*  mfmaIndex:129  */
/* localReadsVacancy: latencyLeft 5 */
v_mfma_f64_16x16x4_f64 v[56+0:63+0], v[vgprG2LB+24+0:vgprG2LB+24+0+1], v[vgprValuA_X0_I0+8+0+0+2:vgprValuA_X0_I0+8+0+0+2+1], v[56:63]
 // Ci += Ai*Br
/*  mfmaIndex:130  */
/* localReadsVacancy: latencyLeft 5 */
/* 1 LDS buffer: read-sync-write */
s_waitcnt lgkmcnt(0)                               // 
s_barrier                                          // 
v_mfma_f64_16x16x4_f64 v[16+0:23+0], v[vgprG2LB+24+0+2:vgprG2LB+24+0+2+1], v[246:247], v[16:23]
 // Cr += -Ai*Bi
/*  mfmaIndex:131  */
/* sched write - iter 6 writesPerItem=1 */
s_waitcnt vmcnt(0)                                 // lgkmcnt=-1 vmcnt=0wait for global read before writing to local
_ds_store_b128 v[vgprLocalWriteAddrA], v[vgprG2LA+0:vgprG2LA+0+3] offset:0 // lwoA_0_0_0_0 = (0*LSCA) + (0*LSPA)(*MT0I+PAD) = 0
/* sched write - iter 6 writesPerItem=1 */
s_waitcnt vmcnt(0)                                 // lgkmcnt=-1 vmcnt=0wait for global read before writing to local
_ds_store_b128 v[vgprLocalWriteAddrA], v[vgprG2LA+4:vgprG2LA+4+3] offset:256 // lwoA_1_0_0_0 = (1*LSCA) + (0*LSPA)(*MT0I+PAD) = 256
v_mfma_f64_16x16x4_f64 v[56+0:63+0], v[vgprG2LB+24+0+2:vgprG2LB+24+0+2+1], v[vgprValuA_X0_I0+8+0+0:vgprValuA_X0_I0+8+0+0+1], v[56:63]
 // Ci += Ar*Bi
/*  mfmaIndex:132  */
/* sched write - iter 6 writesPerItem=1 */
s_waitcnt vmcnt(0)                                 // lgkmcnt=-1 vmcnt=0wait for global read before writing to local
_ds_store_b128 v[vgprLocalWriteAddrA], v[vgprG2LA+8:vgprG2LA+8+3] offset:512 // lwoA_2_0_0_0 = (2*LSCA) + (0*LSPA)(*MT0I+PAD) = 512
v_add_f64 v[246:247], -v[vgprValuA_X0_I0+12+0+0+2:vgprValuA_X0_I0+12+0+0+2+1], 0 // Ai=-Ai
v_mfma_f64_16x16x4_f64 v[24+0:31+0], v[vgprG2LB+24+0:vgprG2LB+24+0+1], v[vgprValuA_X0_I0+12+0+0:vgprValuA_X0_I0+12+0+0+1], v[24:31]
 // Cr += Ar*Br
/*  mfmaIndex:133  */
/* sched write - iter 6 writesPerItem=1 */
s_waitcnt vmcnt(0)                                 // lgkmcnt=-1 vmcnt=0wait for global read before writing to local
_ds_store_b128 v[vgprLocalWriteAddrA], v[vgprG2LA+12:vgprG2LA+12+3] offset:768 // lwoA_3_0_0_0 = (3*LSCA) + (0*LSPA)(*MT0I+PAD) = 768
v_mfma_f64_16x16x4_f64 v[64+0:71+0], v[vgprG2LB+24+0:vgprG2LB+24+0+1], v[vgprValuA_X0_I0+12+0+0+2:vgprValuA_X0_I0+12+0+0+2+1], v[64:71]
 // Ci += Ai*Br
/*  mfmaIndex:134  */
/* sched write - iter 6 writesPerItem=1 */
s_waitcnt vmcnt(0)                                 // lgkmcnt=-1 vmcnt=0wait for global read before writing to local
_ds_store_b128 v[vgprLocalWriteAddrA], v[vgprG2LA+16:vgprG2LA+16+3] offset:1024 // lwoA_4_0_0_0 = (4*LSCA) + (0*LSPA)(*MT0I+PAD) = 1024
v_mfma_f64_16x16x4_f64 v[24+0:31+0], v[vgprG2LB+24+0+2:vgprG2LB+24+0+2+1], v[246:247], v[24:31]
 // Cr += -Ai*Bi
/*  mfmaIndex:135  */
/* sched write - iter 6 writesPerItem=1 */
s_waitcnt vmcnt(0)                                 // lgkmcnt=-1 vmcnt=0wait for global read before writing to local
_ds_store_b128 v[vgprLocalWriteAddrA], v[vgprG2LA+20:vgprG2LA+20+3] offset:20480 // lwoA_0_0_1_0 = (0*LSCA) + (1*LSPA)(*MT0I+PAD) = 20480
v_mfma_f64_16x16x4_f64 v[64+0:71+0], v[vgprG2LB+24+0+2:vgprG2LB+24+0+2+1], v[vgprValuA_X0_I0+12+0+0:vgprValuA_X0_I0+12+0+0+1], v[64:71]
 // Ci += Ar*Bi
/*  mfmaIndex:136  */
/* sched write - iter 6 writesPerItem=1 */
s_waitcnt vmcnt(0)                                 // lgkmcnt=-1 vmcnt=0wait for global read before writing to local
_ds_store_b128 v[vgprLocalWriteAddrA], v[vgprG2LA+24:vgprG2LA+24+3] offset:20736 // lwoA_1_0_1_0 = (1*LSCA) + (1*LSPA)(*MT0I+PAD) = 20736
v_add_f64 v[246:247], -v[vgprValuA_X0_I0+16+0+0+2:vgprValuA_X0_I0+16+0+0+2+1], 0 // Ai=-Ai
v_mfma_f64_16x16x4_f64 v[32+0:39+0], v[vgprG2LB+24+0:vgprG2LB+24+0+1], v[vgprValuA_X0_I0+16+0+0:vgprValuA_X0_I0+16+0+0+1], v[32:39]
 // Cr += Ar*Br
/*  mfmaIndex:137  */
/* sched write - iter 6 writesPerItem=1 */
s_waitcnt vmcnt(0)                                 // lgkmcnt=-1 vmcnt=0wait for global read before writing to local
_ds_store_b128 v[vgprLocalWriteAddrA], v[vgprG2LA+28:vgprG2LA+28+3] offset:20992 // lwoA_2_0_1_0 = (2*LSCA) + (1*LSPA)(*MT0I+PAD) = 20992
v_mfma_f64_16x16x4_f64 v[72+0:79+0], v[vgprG2LB+24+0:vgprG2LB+24+0+1], v[vgprValuA_X0_I0+16+0+0+2:vgprValuA_X0_I0+16+0+0+2+1], v[72:79]
 // Ci += Ai*Br
/*  mfmaIndex:138  */
/* sched write - iter 6 writesPerItem=1 */
s_waitcnt vmcnt(0)                                 // lgkmcnt=-1 vmcnt=0wait for global read before writing to local
_ds_store_b128 v[vgprLocalWriteAddrA], v[vgprG2LA+32:vgprG2LA+32+3] offset:21248 // lwoA_3_0_1_0 = (3*LSCA) + (1*LSPA)(*MT0I+PAD) = 21248
v_mfma_f64_16x16x4_f64 v[32+0:39+0], v[vgprG2LB+24+0+2:vgprG2LB+24+0+2+1], v[246:247], v[32:39]
 // Cr += -Ai*Bi
/*  mfmaIndex:139  */
/* sched write - iter 6 writesPerItem=1 */
s_waitcnt vmcnt(0)                                 // lgkmcnt=-1 vmcnt=0wait for global read before writing to local
_ds_store_b128 v[vgprLocalWriteAddrA], v[vgprG2LA+36:vgprG2LA+36+3] offset:21504 // lwoA_4_0_1_0 = (4*LSCA) + (1*LSPA)(*MT0I+PAD) = 21504

/* local write swap offsets a */

/* local write swap offsets b */

/* local read swap offsets a */

/* local read swap offsets b */

/* local read init pointers a */

/* localReadInitPointers */

/* local read init pointers b */
v_mfma_f64_16x16x4_f64 v[72+0:79+0], v[vgprG2LB+24+0+2:vgprG2LB+24+0+2+1], v[vgprValuA_X0_I0+16+0+0:vgprValuA_X0_I0+16+0+0+1], v[72:79]
 // Ci += Ar*Bi
/* numPrefetchIter=0 */
/* dataAtIterA=5 numReadsIterA=7 skipReadsIterA=1 readsPerIterA=5 */
/* dataAtIterB=5 numReadsIterB=7 skipReadsIterB=1 readsPerIterB=1 */


/* iter 7 */

/*  grEndMfmaIndex:4, lwStartMfmaIndex:131, lwEndMfmaIndex:139  */
/*  numMfmaForLR:10, barrierMfmaIndex:149, LocalWritePerMfma:1.060 */
/*  mfmaIndex:140  */
s_waitcnt lgkmcnt(10)                              // lgkmcnt=0 vmcnt=-1wait for prior local read local write old=0, new=10 newLW=10 newLR=0
v_add_f64 v[246:247], -v[vgprValuA_X1_I0+0+0+0+2:vgprValuA_X1_I0+0+0+0+2+1], 0 // Ai=-Ai
v_mfma_f64_16x16x4_f64 v[0+0:7+0], v[vgprG2LB+28+0:vgprG2LB+28+0+1], v[vgprValuA_X1_I0+0+0+0:vgprValuA_X1_I0+0+0+0+1], v[0:7]
 // Cr += Ar*Br
/*  mfmaIndex:141  */
v_mfma_f64_16x16x4_f64 v[40+0:47+0], v[vgprG2LB+28+0:vgprG2LB+28+0+1], v[vgprValuA_X1_I0+0+0+0+2:vgprValuA_X1_I0+0+0+0+2+1], v[40:47]
 // Ci += Ai*Br
/*  mfmaIndex:142  */
v_mfma_f64_16x16x4_f64 v[0+0:7+0], v[vgprG2LB+28+0+2:vgprG2LB+28+0+2+1], v[246:247], v[0:7]
 // Cr += -Ai*Bi
/*  mfmaIndex:143  */
v_mfma_f64_16x16x4_f64 v[40+0:47+0], v[vgprG2LB+28+0+2:vgprG2LB+28+0+2+1], v[vgprValuA_X1_I0+0+0+0:vgprValuA_X1_I0+0+0+0+1], v[40:47]
 // Ci += Ar*Bi
/*  mfmaIndex:144  */
v_add_f64 v[246:247], -v[vgprValuA_X1_I0+4+0+0+2:vgprValuA_X1_I0+4+0+0+2+1], 0 // Ai=-Ai
v_mfma_f64_16x16x4_f64 v[8+0:15+0], v[vgprG2LB+28+0:vgprG2LB+28+0+1], v[vgprValuA_X1_I0+4+0+0:vgprValuA_X1_I0+4+0+0+1], v[8:15]
 // Cr += Ar*Br
/*  mfmaIndex:145  */
v_mfma_f64_16x16x4_f64 v[48+0:55+0], v[vgprG2LB+28+0:vgprG2LB+28+0+1], v[vgprValuA_X1_I0+4+0+0+2:vgprValuA_X1_I0+4+0+0+2+1], v[48:55]
 // Ci += Ai*Br
/*  mfmaIndex:146  */
v_mfma_f64_16x16x4_f64 v[8+0:15+0], v[vgprG2LB+28+0+2:vgprG2LB+28+0+2+1], v[246:247], v[8:15]
 // Cr += -Ai*Bi
/*  mfmaIndex:147  */
v_mfma_f64_16x16x4_f64 v[48+0:55+0], v[vgprG2LB+28+0+2:vgprG2LB+28+0+2+1], v[vgprValuA_X1_I0+4+0+0:vgprValuA_X1_I0+4+0+0+1], v[48:55]
 // Ci += Ar*Bi
/*  mfmaIndex:148  */
v_add_f64 v[246:247], -v[vgprValuA_X1_I0+8+0+0+2:vgprValuA_X1_I0+8+0+0+2+1], 0 // Ai=-Ai
v_mfma_f64_16x16x4_f64 v[16+0:23+0], v[vgprG2LB+28+0:vgprG2LB+28+0+1], v[vgprValuA_X1_I0+8+0+0:vgprValuA_X1_I0+8+0+0+1], v[16:23]
 // Cr += Ar*Br
/*  mfmaIndex:149  */
s_waitcnt lgkmcnt(0)                               // lgkmcnt=0 vmcnt=-13wait for local write
// Skip force waitcnt0
s_barrier //
v_mfma_f64_16x16x4_f64 v[56+0:63+0], v[vgprG2LB+28+0:vgprG2LB+28+0+1], v[vgprValuA_X1_I0+8+0+0+2:vgprValuA_X1_I0+8+0+0+2+1], v[56:63]
 // Ci += Ai*Br
/*  mfmaIndex:150  */
_ds_load_b128 v[vgprValuA_X0_I0+0:vgprValuA_X0_I0+0+3], v[vgprLocalReadAddrA] offset:0 // L -> Reg lro=0 swapByteOffset=0 ti=16 vIdx=0 rIdx=0 oIdx=0 buffer=0 iui=0
v_mfma_f64_16x16x4_f64 v[16+0:23+0], v[vgprG2LB+28+0+2:vgprG2LB+28+0+2+1], v[246:247], v[16:23]
 // Cr += -Ai*Bi
/*  mfmaIndex:151  */
_ds_load_b128 v[vgprValuA_X0_I0+4:vgprValuA_X0_I0+4+3], v[vgprLocalReadAddrA] offset:256 // L -> Reg lro=0 swapByteOffset=0 ti=16 vIdx=1 rIdx=0 oIdx=0 buffer=0 iui=0
v_mfma_f64_16x16x4_f64 v[56+0:63+0], v[vgprG2LB+28+0+2:vgprG2LB+28+0+2+1], v[vgprValuA_X1_I0+8+0+0:vgprValuA_X1_I0+8+0+0+1], v[56:63]
 // Ci += Ar*Bi
/*  mfmaIndex:152  */
_ds_load_b128 v[vgprValuA_X0_I0+8:vgprValuA_X0_I0+8+3], v[vgprLocalReadAddrA] offset:512 // L -> Reg lro=0 swapByteOffset=0 ti=16 vIdx=2 rIdx=0 oIdx=0 buffer=0 iui=0
v_add_f64 v[246:247], -v[vgprValuA_X1_I0+12+0+0+2:vgprValuA_X1_I0+12+0+0+2+1], 0 // Ai=-Ai
v_mfma_f64_16x16x4_f64 v[24+0:31+0], v[vgprG2LB+28+0:vgprG2LB+28+0+1], v[vgprValuA_X1_I0+12+0+0:vgprValuA_X1_I0+12+0+0+1], v[24:31]
 // Cr += Ar*Br
/*  mfmaIndex:153  */
_ds_load_b128 v[vgprValuA_X0_I0+12:vgprValuA_X0_I0+12+3], v[vgprLocalReadAddrA] offset:768 // L -> Reg lro=0 swapByteOffset=0 ti=16 vIdx=3 rIdx=0 oIdx=0 buffer=0 iui=0
v_mfma_f64_16x16x4_f64 v[64+0:71+0], v[vgprG2LB+28+0:vgprG2LB+28+0+1], v[vgprValuA_X1_I0+12+0+0+2:vgprValuA_X1_I0+12+0+0+2+1], v[64:71]
 // Ci += Ai*Br
/*  mfmaIndex:154  */
_ds_load_b128 v[vgprValuA_X0_I0+16:vgprValuA_X0_I0+16+3], v[vgprLocalReadAddrA] offset:1024 // L -> Reg lro=0 swapByteOffset=0 ti=16 vIdx=4 rIdx=0 oIdx=0 buffer=0 iui=0
v_mfma_f64_16x16x4_f64 v[24+0:31+0], v[vgprG2LB+28+0+2:vgprG2LB+28+0+2+1], v[246:247], v[24:31]
 // Cr += -Ai*Bi
/*  mfmaIndex:155  */
v_mfma_f64_16x16x4_f64 v[64+0:71+0], v[vgprG2LB+28+0+2:vgprG2LB+28+0+2+1], v[vgprValuA_X1_I0+12+0+0:vgprValuA_X1_I0+12+0+0+1], v[64:71]
 // Ci += Ar*Bi
/*  mfmaIndex:156  */
v_add_f64 v[246:247], -v[vgprValuA_X1_I0+16+0+0+2:vgprValuA_X1_I0+16+0+0+2+1], 0 // Ai=-Ai
v_mfma_f64_16x16x4_f64 v[32+0:39+0], v[vgprG2LB+28+0:vgprG2LB+28+0+1], v[vgprValuA_X1_I0+16+0+0:vgprValuA_X1_I0+16+0+0+1], v[32:39]
 // Cr += Ar*Br
/*  mfmaIndex:157  */
v_mfma_f64_16x16x4_f64 v[72+0:79+0], v[vgprG2LB+28+0:vgprG2LB+28+0+1], v[vgprValuA_X1_I0+16+0+0+2:vgprValuA_X1_I0+16+0+0+2+1], v[72:79]
 // Ci += Ai*Br
/*  mfmaIndex:158  */
v_mfma_f64_16x16x4_f64 v[32+0:39+0], v[vgprG2LB+28+0+2:vgprG2LB+28+0+2+1], v[246:247], v[32:39]
 // Cr += -Ai*Bi
/*  mfmaIndex:159  */
v_mfma_f64_16x16x4_f64 v[72+0:79+0], v[vgprG2LB+28+0+2:vgprG2LB+28+0+2+1], v[vgprValuA_X1_I0+16+0+0:vgprValuA_X1_I0+16+0+0+1], v[72:79]
 // Ci += Ar*Bi
/* numPrefetchIter=1 */
/* dataAtIterA=6 numReadsIterA=7 skipReadsIterA=1 readsPerIterA=5 */
/* dataAtIterB=6 numReadsIterB=7 skipReadsIterB=1 readsPerIterB=1 */

label_0018: // EvenEndNoGlobalLoadLoopOrd 

label_0014:


/******************************************/
/* Opt. NoLoadLoop Without PAP - Begin                                      */
/******************************************/

s_mov_b32 s32, s[sgprBeta+0]                       // tmp = Beta[0]
s_or_b32 s32, s[sgprBeta+1], s32                   // tmp |= Beta[1] 
s_or_b32 s32, s[sgprBeta+2], s32                   // tmp |= Beta[2] 
	;; [unrolled: 1-line block ×3, first 2 shown]
s_cmpk_eq_u32 s32, 0x0                             // Beta == 0
s_cbranch_scc0 OptNLL_End_19                       // Branch if Beta is not zero

s_mov_b32 s32, 0x00000000                          // lsb of real part of 1.0
s_mov_b32 s33, 0x3ff00000                          // msb of real part of 1.0
s_cmp_eq_u64 s[sgprAlpha:sgprAlpha+1], s[32:33]    // Alpha.real == 1.0 ?
s_cbranch_scc0 OptNLL_End_19                       // branch if alpha.real != 1
s_mov_b32 s32, 0x00000000                          // lsb of imag part of 0.0
s_mov_b32 s33, 0x00000000                          // msb of imag part of 0.0
s_cmp_eq_u64 s[sgprAlpha+2:sgprAlpha+2+1], s[32:33] // Alpha.imag == 0.0 ?
s_cbranch_scc0 OptNLL_End_19                       // branch if alpha != 1

s_mov_b32 s35, 0x0                                 // STATIC_DIV: divisior=80
s_mul_i32 s34, 0x666, s[sgprSizeI]                 // tmp1 = dividend * magic hi
s_lshl_b64 s[34:35], s[34:35], 0x10                // left shift 16 bits
s_mul_i32 s33, s[sgprSizeI], 0x6667                // tmp0 = dividend * magic lo
s_add_u32 s34, s33, s34                            // add lo
s_addc_u32 s35, s35, 0x0                           // add hi
s_lshr_b64 s[34:35], s[34:35], 0x21                // tmp1 = (dividend * magic) << shift
s_mov_b32 s33, s34                                 // quotient
s_mul_i32 s34, s33, 0x50                           // quotient*divisor
s_sub_u32 s32, s[sgprSizeI], s34                   // rReg = dividend - quotient*divisor
s_add_u32 s33, -0x1, s[sgprNumWorkGroups0]         // 
s_cmp_ge_u32 s[sgprWorkGroup0], s33                // wg0 >= nwg0-1 ?
s_cselect_b32 s32, s32, 0                          // set rMT0
s_cmpk_gt_u32 s32, 0x0                             // rMT0 > 0
s_cbranch_scc1 OptNLL_End_19                       // jump if edges required
s_and_b32 s32, 63, s[sgprSizeJ]                    // s32 = s[sgprSizeJ] % 64
s_add_u32 s33, -0x1, s[sgprNumWorkGroups1]         // 
s_cmp_ge_u32 s[sgprWorkGroup1], s33                // wg1 >= nwg1-1
s_cselect_b32 s32, s32, 0                          // set rMT1
s_cmpk_gt_u32 s32, 0x0                             // rMT1 > 0
s_cbranch_scc1 OptNLL_End_19                       // jump if edges required


	;; [unrolled: 1-line block ×3, first 2 shown]
/* Tail Loop in NoLoadLoop */
//numIterL = (((sizeL % LOCAL_DEPTHU) + LOCAL_SPLITU - 1) / LOCAL_SPLITU)
s_and_b32 s[sgprLoopCounterL], 31, s[sgprSizesSum+0] // s[sgprLoopCounterL] = s[sgprSizesSum+0] % 32
s_cmp_eq_u32 s[sgprLoopCounterL], 0x0              // numIterL == 0
s_cmov_b32 s[sgprLoopCounterL], 0x20               // Convert 0 to DepthU in tail loop NLL case

s_and_b32 s31, s[sgprOrigLoopCounter], 1           // test if OrigLoopCounter is Odd ?
s_cbranch_scc0 label_0020                          // Skip odd code if OrigLoopCounter is Even


	;; [unrolled: 1-line block ×3, first 2 shown]
/* iter 0 (last unrolled loop) */

s_waitcnt vmcnt(7)                                 // lgkmcnt=-1 vmcnt=7global read wait for DirectToVgpr

/*  grEndMfmaIndex:0, lwStartMfmaIndex:139, lwEndMfmaIndex:139  */
/*  numMfmaForLR:10, barrierMfmaIndex:149, LocalWritePerMfma:1.060 */
/*  mfmaIndex:0  */
s_waitcnt lgkmcnt(0)                               // lgkmcnt=0 vmcnt=-1wait for prior local read local write old=0, new=0 newLW=0 newLR=0
v_add_f64 v[246:247], -v[vgprValuA_X0_I0+0+0+0+2:vgprValuA_X0_I0+0+0+0+2+1], 0 // Ai=-Ai
v_mfma_f64_16x16x4_f64 v[0+0:7+0], v[vgprG2LB+0+0:vgprG2LB+0+0+1], v[vgprValuA_X0_I0+0+0+0:vgprValuA_X0_I0+0+0+0+1], v[0:7]
 // Cr += Ar*Br
/*  mfmaIndex:1  */
_ds_load_b128 v[vgprValuA_X1_I0+0:vgprValuA_X1_I0+0+3], v[vgprLocalReadAddrA] offset:5120 // L -> Reg lro=320 swapByteOffset=0 ti=16 vIdx=0 rIdx=0 oIdx=0 buffer=1 iui=0
v_mfma_f64_16x16x4_f64 v[40+0:47+0], v[vgprG2LB+0+0:vgprG2LB+0+0+1], v[vgprValuA_X0_I0+0+0+0+2:vgprValuA_X0_I0+0+0+0+2+1], v[40:47]
 // Ci += Ai*Br
/*  mfmaIndex:2  */
_ds_load_b128 v[vgprValuA_X1_I0+4:vgprValuA_X1_I0+4+3], v[vgprLocalReadAddrA] offset:5376 // L -> Reg lro=320 swapByteOffset=0 ti=16 vIdx=1 rIdx=0 oIdx=0 buffer=1 iui=0
v_mfma_f64_16x16x4_f64 v[0+0:7+0], v[vgprG2LB+0+0+2:vgprG2LB+0+0+2+1], v[246:247], v[0:7]
 // Cr += -Ai*Bi
/*  mfmaIndex:3  */
_ds_load_b128 v[vgprValuA_X1_I0+8:vgprValuA_X1_I0+8+3], v[vgprLocalReadAddrA] offset:5632 // L -> Reg lro=320 swapByteOffset=0 ti=16 vIdx=2 rIdx=0 oIdx=0 buffer=1 iui=0
v_mfma_f64_16x16x4_f64 v[40+0:47+0], v[vgprG2LB+0+0+2:vgprG2LB+0+0+2+1], v[vgprValuA_X0_I0+0+0+0:vgprValuA_X0_I0+0+0+0+1], v[40:47]
 // Ci += Ar*Bi
/*  mfmaIndex:4  */
_ds_load_b128 v[vgprValuA_X1_I0+12:vgprValuA_X1_I0+12+3], v[vgprLocalReadAddrA] offset:5888 // L -> Reg lro=320 swapByteOffset=0 ti=16 vIdx=3 rIdx=0 oIdx=0 buffer=1 iui=0
v_add_f64 v[246:247], -v[vgprValuA_X0_I0+4+0+0+2:vgprValuA_X0_I0+4+0+0+2+1], 0 // Ai=-Ai
v_mfma_f64_16x16x4_f64 v[8+0:15+0], v[vgprG2LB+0+0:vgprG2LB+0+0+1], v[vgprValuA_X0_I0+4+0+0:vgprValuA_X0_I0+4+0+0+1], v[8:15]
 // Cr += Ar*Br
/*  mfmaIndex:5  */
_ds_load_b128 v[vgprValuA_X1_I0+16:vgprValuA_X1_I0+16+3], v[vgprLocalReadAddrA] offset:6144 // L -> Reg lro=320 swapByteOffset=0 ti=16 vIdx=4 rIdx=0 oIdx=0 buffer=1 iui=0
/* localReadsVacancy: latencyLeft 1 */
v_mfma_f64_16x16x4_f64 v[48+0:55+0], v[vgprG2LB+0+0:vgprG2LB+0+0+1], v[vgprValuA_X0_I0+4+0+0+2:vgprValuA_X0_I0+4+0+0+2+1], v[48:55]
 // Ci += Ai*Br
/*  mfmaIndex:6  */
/* localReadsVacancy: latencyLeft 5 */
v_mfma_f64_16x16x4_f64 v[8+0:15+0], v[vgprG2LB+0+0+2:vgprG2LB+0+0+2+1], v[246:247], v[8:15]
 // Cr += -Ai*Bi
/*  mfmaIndex:7  */
/* localReadsVacancy: latencyLeft 5 */
v_mfma_f64_16x16x4_f64 v[48+0:55+0], v[vgprG2LB+0+0+2:vgprG2LB+0+0+2+1], v[vgprValuA_X0_I0+4+0+0:vgprValuA_X0_I0+4+0+0+1], v[48:55]
 // Ci += Ar*Bi
/*  mfmaIndex:8  */
/* localReadsVacancy: latencyLeft 5 */
v_add_f64 v[246:247], -v[vgprValuA_X0_I0+8+0+0+2:vgprValuA_X0_I0+8+0+0+2+1], 0 // Ai=-Ai
v_mfma_f64_16x16x4_f64 v[16+0:23+0], v[vgprG2LB+0+0:vgprG2LB+0+0+1], v[vgprValuA_X0_I0+8+0+0:vgprValuA_X0_I0+8+0+0+1], v[16:23]
 // Cr += Ar*Br
/*  mfmaIndex:9  */
/* localReadsVacancy: latencyLeft 5 */
v_mfma_f64_16x16x4_f64 v[56+0:63+0], v[vgprG2LB+0+0:vgprG2LB+0+0+1], v[vgprValuA_X0_I0+8+0+0+2:vgprValuA_X0_I0+8+0+0+2+1], v[56:63]
 // Ci += Ai*Br
/*  mfmaIndex:10  */
/* localReadsVacancy: latencyLeft 5 */
v_mfma_f64_16x16x4_f64 v[16+0:23+0], v[vgprG2LB+0+0+2:vgprG2LB+0+0+2+1], v[246:247], v[16:23]
 // Cr += -Ai*Bi
/*  mfmaIndex:11  */
/* localReadsVacancy: latencyLeft 5 */
v_mfma_f64_16x16x4_f64 v[56+0:63+0], v[vgprG2LB+0+0+2:vgprG2LB+0+0+2+1], v[vgprValuA_X0_I0+8+0+0:vgprValuA_X0_I0+8+0+0+1], v[56:63]
 // Ci += Ar*Bi
/*  mfmaIndex:12  */
/* localReadsVacancy: latencyLeft 5 */
v_add_f64 v[246:247], -v[vgprValuA_X0_I0+12+0+0+2:vgprValuA_X0_I0+12+0+0+2+1], 0 // Ai=-Ai
v_mfma_f64_16x16x4_f64 v[24+0:31+0], v[vgprG2LB+0+0:vgprG2LB+0+0+1], v[vgprValuA_X0_I0+12+0+0:vgprValuA_X0_I0+12+0+0+1], v[24:31]
 // Cr += Ar*Br
/*  mfmaIndex:13  */
	;; [unrolled: 17-line block ×3, first 2 shown]
/* localReadsVacancy: latencyLeft 5 */
v_mfma_f64_16x16x4_f64 v[72+0:79+0], v[vgprG2LB+0+0:vgprG2LB+0+0+1], v[vgprValuA_X0_I0+16+0+0+2:vgprValuA_X0_I0+16+0+0+2+1], v[72:79]
 // Ci += Ai*Br
/*  mfmaIndex:18  */
/* localReadsVacancy: latencyLeft 5 */
v_mfma_f64_16x16x4_f64 v[32+0:39+0], v[vgprG2LB+0+0+2:vgprG2LB+0+0+2+1], v[246:247], v[32:39]
 // Cr += -Ai*Bi
/*  mfmaIndex:19  */
/* localReadsVacancy: latencyLeft 5 */
v_mfma_f64_16x16x4_f64 v[72+0:79+0], v[vgprG2LB+0+0+2:vgprG2LB+0+0+2+1], v[vgprValuA_X0_I0+16+0+0:vgprValuA_X0_I0+16+0+0+1], v[72:79]
 // Ci += Ar*Bi
/* numPrefetchIter=0 */
/* dataAtIterA=-1 numReadsIterA=1 skipReadsIterA=1 readsPerIterA=5 */
/* dataAtIterB=-1 numReadsIterB=1 skipReadsIterB=1 readsPerIterB=1 */


/* closeLoop loopL finalLoop=0 tailLoop=1 */
s_sub_i32 s[sgprLoopCounterL], s[sgprLoopCounterL], 0x4 // dec counterL (tailLoop)
s_add_u32 s[sgprOrigLoopCounter], s[sgprOrigLoopCounter], 0x4 // inc counterL
s_cmp_le_i32 s[sgprLoopCounterL], 0x0              // counterL<=0
s_cbranch_scc1 TailLoopEndL_OptNLL_oddexit_23      // exit LoopL


/* iter 1 (last unrolled loop) */

s_waitcnt vmcnt(6)                                 // lgkmcnt=-1 vmcnt=6global read wait for DirectToVgpr

/*  grEndMfmaIndex:0, lwStartMfmaIndex:139, lwEndMfmaIndex:139  */
/*  numMfmaForLR:10, barrierMfmaIndex:149, LocalWritePerMfma:1.060 */
/*  mfmaIndex:20  */
_ds_load_b128 v[vgprValuA_X0_I0+0:vgprValuA_X0_I0+0+3], v[vgprLocalReadAddrA] offset:10240 // L -> Reg lro=640 swapByteOffset=0 ti=16 vIdx=0 rIdx=0 oIdx=0 buffer=0 iui=0
s_waitcnt lgkmcnt(1)                               // lgkmcnt=0 vmcnt=-1wait for prior local read local write old=0, new=1 newLW=0 newLR=1
v_add_f64 v[246:247], -v[vgprValuA_X1_I0+0+0+0+2:vgprValuA_X1_I0+0+0+0+2+1], 0 // Ai=-Ai
v_mfma_f64_16x16x4_f64 v[0+0:7+0], v[vgprG2LB+4+0:vgprG2LB+4+0+1], v[vgprValuA_X1_I0+0+0+0:vgprValuA_X1_I0+0+0+0+1], v[0:7]
 // Cr += Ar*Br
/*  mfmaIndex:21  */
_ds_load_b128 v[vgprValuA_X0_I0+4:vgprValuA_X0_I0+4+3], v[vgprLocalReadAddrA] offset:10496 // L -> Reg lro=640 swapByteOffset=0 ti=16 vIdx=1 rIdx=0 oIdx=0 buffer=0 iui=0
v_mfma_f64_16x16x4_f64 v[40+0:47+0], v[vgprG2LB+4+0:vgprG2LB+4+0+1], v[vgprValuA_X1_I0+0+0+0+2:vgprValuA_X1_I0+0+0+0+2+1], v[40:47]
 // Ci += Ai*Br
/*  mfmaIndex:22  */
_ds_load_b128 v[vgprValuA_X0_I0+8:vgprValuA_X0_I0+8+3], v[vgprLocalReadAddrA] offset:10752 // L -> Reg lro=640 swapByteOffset=0 ti=16 vIdx=2 rIdx=0 oIdx=0 buffer=0 iui=0
v_mfma_f64_16x16x4_f64 v[0+0:7+0], v[vgprG2LB+4+0+2:vgprG2LB+4+0+2+1], v[246:247], v[0:7]
 // Cr += -Ai*Bi
/*  mfmaIndex:23  */
_ds_load_b128 v[vgprValuA_X0_I0+12:vgprValuA_X0_I0+12+3], v[vgprLocalReadAddrA] offset:11008 // L -> Reg lro=640 swapByteOffset=0 ti=16 vIdx=3 rIdx=0 oIdx=0 buffer=0 iui=0
v_mfma_f64_16x16x4_f64 v[40+0:47+0], v[vgprG2LB+4+0+2:vgprG2LB+4+0+2+1], v[vgprValuA_X1_I0+0+0+0:vgprValuA_X1_I0+0+0+0+1], v[40:47]
 // Ci += Ar*Bi
/*  mfmaIndex:24  */
_ds_load_b128 v[vgprValuA_X0_I0+16:vgprValuA_X0_I0+16+3], v[vgprLocalReadAddrA] offset:11264 // L -> Reg lro=640 swapByteOffset=0 ti=16 vIdx=4 rIdx=0 oIdx=0 buffer=0 iui=0
/* localReadsVacancy: latencyLeft 1 */
v_add_f64 v[246:247], -v[vgprValuA_X1_I0+4+0+0+2:vgprValuA_X1_I0+4+0+0+2+1], 0 // Ai=-Ai
v_mfma_f64_16x16x4_f64 v[8+0:15+0], v[vgprG2LB+4+0:vgprG2LB+4+0+1], v[vgprValuA_X1_I0+4+0+0:vgprValuA_X1_I0+4+0+0+1], v[8:15]
 // Cr += Ar*Br
/*  mfmaIndex:25  */
/* localReadsVacancy: latencyLeft 5 */
v_mfma_f64_16x16x4_f64 v[48+0:55+0], v[vgprG2LB+4+0:vgprG2LB+4+0+1], v[vgprValuA_X1_I0+4+0+0+2:vgprValuA_X1_I0+4+0+0+2+1], v[48:55]
 // Ci += Ai*Br
/*  mfmaIndex:26  */
/* localReadsVacancy: latencyLeft 5 */
v_mfma_f64_16x16x4_f64 v[8+0:15+0], v[vgprG2LB+4+0+2:vgprG2LB+4+0+2+1], v[246:247], v[8:15]
 // Cr += -Ai*Bi
/*  mfmaIndex:27  */
/* localReadsVacancy: latencyLeft 5 */
v_mfma_f64_16x16x4_f64 v[48+0:55+0], v[vgprG2LB+4+0+2:vgprG2LB+4+0+2+1], v[vgprValuA_X1_I0+4+0+0:vgprValuA_X1_I0+4+0+0+1], v[48:55]
 // Ci += Ar*Bi
/*  mfmaIndex:28  */
/* localReadsVacancy: latencyLeft 5 */
v_add_f64 v[246:247], -v[vgprValuA_X1_I0+8+0+0+2:vgprValuA_X1_I0+8+0+0+2+1], 0 // Ai=-Ai
v_mfma_f64_16x16x4_f64 v[16+0:23+0], v[vgprG2LB+4+0:vgprG2LB+4+0+1], v[vgprValuA_X1_I0+8+0+0:vgprValuA_X1_I0+8+0+0+1], v[16:23]
 // Cr += Ar*Br
/*  mfmaIndex:29  */
/* localReadsVacancy: latencyLeft 5 */
v_mfma_f64_16x16x4_f64 v[56+0:63+0], v[vgprG2LB+4+0:vgprG2LB+4+0+1], v[vgprValuA_X1_I0+8+0+0+2:vgprValuA_X1_I0+8+0+0+2+1], v[56:63]
 // Ci += Ai*Br
/*  mfmaIndex:30  */
/* localReadsVacancy: latencyLeft 5 */
v_mfma_f64_16x16x4_f64 v[16+0:23+0], v[vgprG2LB+4+0+2:vgprG2LB+4+0+2+1], v[246:247], v[16:23]
 // Cr += -Ai*Bi
/*  mfmaIndex:31  */
/* localReadsVacancy: latencyLeft 5 */
v_mfma_f64_16x16x4_f64 v[56+0:63+0], v[vgprG2LB+4+0+2:vgprG2LB+4+0+2+1], v[vgprValuA_X1_I0+8+0+0:vgprValuA_X1_I0+8+0+0+1], v[56:63]
 // Ci += Ar*Bi
/*  mfmaIndex:32  */
	;; [unrolled: 17-line block ×3, first 2 shown]
/* localReadsVacancy: latencyLeft 5 */
v_add_f64 v[246:247], -v[vgprValuA_X1_I0+16+0+0+2:vgprValuA_X1_I0+16+0+0+2+1], 0 // Ai=-Ai
v_mfma_f64_16x16x4_f64 v[32+0:39+0], v[vgprG2LB+4+0:vgprG2LB+4+0+1], v[vgprValuA_X1_I0+16+0+0:vgprValuA_X1_I0+16+0+0+1], v[32:39]
 // Cr += Ar*Br
/*  mfmaIndex:37  */
/* localReadsVacancy: latencyLeft 5 */
v_mfma_f64_16x16x4_f64 v[72+0:79+0], v[vgprG2LB+4+0:vgprG2LB+4+0+1], v[vgprValuA_X1_I0+16+0+0+2:vgprValuA_X1_I0+16+0+0+2+1], v[72:79]
 // Ci += Ai*Br
/*  mfmaIndex:38  */
/* localReadsVacancy: latencyLeft 5 */
v_mfma_f64_16x16x4_f64 v[32+0:39+0], v[vgprG2LB+4+0+2:vgprG2LB+4+0+2+1], v[246:247], v[32:39]
 // Cr += -Ai*Bi
/*  mfmaIndex:39  */
/* localReadsVacancy: latencyLeft 5 */
v_mfma_f64_16x16x4_f64 v[72+0:79+0], v[vgprG2LB+4+0+2:vgprG2LB+4+0+2+1], v[vgprValuA_X1_I0+16+0+0:vgprValuA_X1_I0+16+0+0+1], v[72:79]
 // Ci += Ar*Bi
/* numPrefetchIter=0 */
/* dataAtIterA=0 numReadsIterA=2 skipReadsIterA=1 readsPerIterA=5 */
/* dataAtIterB=0 numReadsIterB=2 skipReadsIterB=1 readsPerIterB=1 */


/* closeLoop loopL finalLoop=0 tailLoop=1 */
s_sub_i32 s[sgprLoopCounterL], s[sgprLoopCounterL], 0x4 // dec counterL (tailLoop)
s_add_u32 s[sgprOrigLoopCounter], s[sgprOrigLoopCounter], 0x4 // inc counterL
s_cmp_le_i32 s[sgprLoopCounterL], 0x0              // counterL<=0
s_cbranch_scc1 TailLoopEndL_OptNLL_oddexit_23      // exit LoopL


/* iter 2 (last unrolled loop) */

s_waitcnt vmcnt(5)                                 // lgkmcnt=-1 vmcnt=5global read wait for DirectToVgpr

/*  grEndMfmaIndex:0, lwStartMfmaIndex:139, lwEndMfmaIndex:139  */
/*  numMfmaForLR:10, barrierMfmaIndex:149, LocalWritePerMfma:1.060 */
/*  mfmaIndex:40  */
_ds_load_b128 v[vgprValuA_X1_I0+0:vgprValuA_X1_I0+0+3], v[vgprLocalReadAddrA] offset:15360 // L -> Reg lro=960 swapByteOffset=0 ti=16 vIdx=0 rIdx=0 oIdx=0 buffer=1 iui=0
s_waitcnt lgkmcnt(1)                               // lgkmcnt=0 vmcnt=-1wait for prior local read local write old=0, new=1 newLW=0 newLR=1
v_add_f64 v[246:247], -v[vgprValuA_X0_I0+0+0+0+2:vgprValuA_X0_I0+0+0+0+2+1], 0 // Ai=-Ai
v_mfma_f64_16x16x4_f64 v[0+0:7+0], v[vgprG2LB+8+0:vgprG2LB+8+0+1], v[vgprValuA_X0_I0+0+0+0:vgprValuA_X0_I0+0+0+0+1], v[0:7]
 // Cr += Ar*Br
/*  mfmaIndex:41  */
_ds_load_b128 v[vgprValuA_X1_I0+4:vgprValuA_X1_I0+4+3], v[vgprLocalReadAddrA] offset:15616 // L -> Reg lro=960 swapByteOffset=0 ti=16 vIdx=1 rIdx=0 oIdx=0 buffer=1 iui=0
v_mfma_f64_16x16x4_f64 v[40+0:47+0], v[vgprG2LB+8+0:vgprG2LB+8+0+1], v[vgprValuA_X0_I0+0+0+0+2:vgprValuA_X0_I0+0+0+0+2+1], v[40:47]
 // Ci += Ai*Br
/*  mfmaIndex:42  */
_ds_load_b128 v[vgprValuA_X1_I0+8:vgprValuA_X1_I0+8+3], v[vgprLocalReadAddrA] offset:15872 // L -> Reg lro=960 swapByteOffset=0 ti=16 vIdx=2 rIdx=0 oIdx=0 buffer=1 iui=0
v_mfma_f64_16x16x4_f64 v[0+0:7+0], v[vgprG2LB+8+0+2:vgprG2LB+8+0+2+1], v[246:247], v[0:7]
 // Cr += -Ai*Bi
/*  mfmaIndex:43  */
_ds_load_b128 v[vgprValuA_X1_I0+12:vgprValuA_X1_I0+12+3], v[vgprLocalReadAddrA] offset:16128 // L -> Reg lro=960 swapByteOffset=0 ti=16 vIdx=3 rIdx=0 oIdx=0 buffer=1 iui=0
v_mfma_f64_16x16x4_f64 v[40+0:47+0], v[vgprG2LB+8+0+2:vgprG2LB+8+0+2+1], v[vgprValuA_X0_I0+0+0+0:vgprValuA_X0_I0+0+0+0+1], v[40:47]
 // Ci += Ar*Bi
/*  mfmaIndex:44  */
_ds_load_b128 v[vgprValuA_X1_I0+16:vgprValuA_X1_I0+16+3], v[vgprLocalReadAddrA] offset:16384 // L -> Reg lro=960 swapByteOffset=0 ti=16 vIdx=4 rIdx=0 oIdx=0 buffer=1 iui=0
/* localReadsVacancy: latencyLeft 1 */
v_add_f64 v[246:247], -v[vgprValuA_X0_I0+4+0+0+2:vgprValuA_X0_I0+4+0+0+2+1], 0 // Ai=-Ai
v_mfma_f64_16x16x4_f64 v[8+0:15+0], v[vgprG2LB+8+0:vgprG2LB+8+0+1], v[vgprValuA_X0_I0+4+0+0:vgprValuA_X0_I0+4+0+0+1], v[8:15]
 // Cr += Ar*Br
/*  mfmaIndex:45  */
/* localReadsVacancy: latencyLeft 5 */
v_mfma_f64_16x16x4_f64 v[48+0:55+0], v[vgprG2LB+8+0:vgprG2LB+8+0+1], v[vgprValuA_X0_I0+4+0+0+2:vgprValuA_X0_I0+4+0+0+2+1], v[48:55]
 // Ci += Ai*Br
/*  mfmaIndex:46  */
/* localReadsVacancy: latencyLeft 5 */
v_mfma_f64_16x16x4_f64 v[8+0:15+0], v[vgprG2LB+8+0+2:vgprG2LB+8+0+2+1], v[246:247], v[8:15]
 // Cr += -Ai*Bi
/*  mfmaIndex:47  */
/* localReadsVacancy: latencyLeft 5 */
v_mfma_f64_16x16x4_f64 v[48+0:55+0], v[vgprG2LB+8+0+2:vgprG2LB+8+0+2+1], v[vgprValuA_X0_I0+4+0+0:vgprValuA_X0_I0+4+0+0+1], v[48:55]
 // Ci += Ar*Bi
/*  mfmaIndex:48  */
/* localReadsVacancy: latencyLeft 5 */
v_add_f64 v[246:247], -v[vgprValuA_X0_I0+8+0+0+2:vgprValuA_X0_I0+8+0+0+2+1], 0 // Ai=-Ai
v_mfma_f64_16x16x4_f64 v[16+0:23+0], v[vgprG2LB+8+0:vgprG2LB+8+0+1], v[vgprValuA_X0_I0+8+0+0:vgprValuA_X0_I0+8+0+0+1], v[16:23]
 // Cr += Ar*Br
/*  mfmaIndex:49  */
/* localReadsVacancy: latencyLeft 5 */
v_mfma_f64_16x16x4_f64 v[56+0:63+0], v[vgprG2LB+8+0:vgprG2LB+8+0+1], v[vgprValuA_X0_I0+8+0+0+2:vgprValuA_X0_I0+8+0+0+2+1], v[56:63]
 // Ci += Ai*Br
/*  mfmaIndex:50  */
/* localReadsVacancy: latencyLeft 5 */
v_mfma_f64_16x16x4_f64 v[16+0:23+0], v[vgprG2LB+8+0+2:vgprG2LB+8+0+2+1], v[246:247], v[16:23]
 // Cr += -Ai*Bi
/*  mfmaIndex:51  */
/* localReadsVacancy: latencyLeft 5 */
v_mfma_f64_16x16x4_f64 v[56+0:63+0], v[vgprG2LB+8+0+2:vgprG2LB+8+0+2+1], v[vgprValuA_X0_I0+8+0+0:vgprValuA_X0_I0+8+0+0+1], v[56:63]
 // Ci += Ar*Bi
/*  mfmaIndex:52  */
	;; [unrolled: 17-line block ×3, first 2 shown]
/* localReadsVacancy: latencyLeft 5 */
v_add_f64 v[246:247], -v[vgprValuA_X0_I0+16+0+0+2:vgprValuA_X0_I0+16+0+0+2+1], 0 // Ai=-Ai
v_mfma_f64_16x16x4_f64 v[32+0:39+0], v[vgprG2LB+8+0:vgprG2LB+8+0+1], v[vgprValuA_X0_I0+16+0+0:vgprValuA_X0_I0+16+0+0+1], v[32:39]
 // Cr += Ar*Br
/*  mfmaIndex:57  */
/* localReadsVacancy: latencyLeft 5 */
v_mfma_f64_16x16x4_f64 v[72+0:79+0], v[vgprG2LB+8+0:vgprG2LB+8+0+1], v[vgprValuA_X0_I0+16+0+0+2:vgprValuA_X0_I0+16+0+0+2+1], v[72:79]
 // Ci += Ai*Br
/*  mfmaIndex:58  */
/* localReadsVacancy: latencyLeft 5 */
v_mfma_f64_16x16x4_f64 v[32+0:39+0], v[vgprG2LB+8+0+2:vgprG2LB+8+0+2+1], v[246:247], v[32:39]
 // Cr += -Ai*Bi
/*  mfmaIndex:59  */
/* localReadsVacancy: latencyLeft 5 */
v_mfma_f64_16x16x4_f64 v[72+0:79+0], v[vgprG2LB+8+0+2:vgprG2LB+8+0+2+1], v[vgprValuA_X0_I0+16+0+0:vgprValuA_X0_I0+16+0+0+1], v[72:79]
 // Ci += Ar*Bi
/* numPrefetchIter=0 */
/* dataAtIterA=1 numReadsIterA=3 skipReadsIterA=1 readsPerIterA=5 */
/* dataAtIterB=1 numReadsIterB=3 skipReadsIterB=1 readsPerIterB=1 */


/* closeLoop loopL finalLoop=0 tailLoop=1 */
s_sub_i32 s[sgprLoopCounterL], s[sgprLoopCounterL], 0x4 // dec counterL (tailLoop)
s_add_u32 s[sgprOrigLoopCounter], s[sgprOrigLoopCounter], 0x4 // inc counterL
s_cmp_le_i32 s[sgprLoopCounterL], 0x0              // counterL<=0
s_cbranch_scc1 TailLoopEndL_OptNLL_oddexit_23      // exit LoopL


/* iter 3 (last unrolled loop) */

s_waitcnt vmcnt(4)                                 // lgkmcnt=-1 vmcnt=4global read wait for DirectToVgpr

/*  grEndMfmaIndex:0, lwStartMfmaIndex:139, lwEndMfmaIndex:139  */
/*  numMfmaForLR:10, barrierMfmaIndex:149, LocalWritePerMfma:1.060 */
/*  mfmaIndex:60  */
_ds_load_b128 v[vgprValuA_X0_I0+0:vgprValuA_X0_I0+0+3], v[vgprLocalReadAddrA] offset:20480 // L -> Reg lro=1280 swapByteOffset=0 ti=16 vIdx=0 rIdx=0 oIdx=0 buffer=0 iui=0
s_waitcnt lgkmcnt(1)                               // lgkmcnt=0 vmcnt=-1wait for prior local read local write old=0, new=1 newLW=0 newLR=1
v_add_f64 v[246:247], -v[vgprValuA_X1_I0+0+0+0+2:vgprValuA_X1_I0+0+0+0+2+1], 0 // Ai=-Ai
v_mfma_f64_16x16x4_f64 v[0+0:7+0], v[vgprG2LB+12+0:vgprG2LB+12+0+1], v[vgprValuA_X1_I0+0+0+0:vgprValuA_X1_I0+0+0+0+1], v[0:7]
 // Cr += Ar*Br
/*  mfmaIndex:61  */
_ds_load_b128 v[vgprValuA_X0_I0+4:vgprValuA_X0_I0+4+3], v[vgprLocalReadAddrA] offset:20736 // L -> Reg lro=1280 swapByteOffset=0 ti=16 vIdx=1 rIdx=0 oIdx=0 buffer=0 iui=0
v_mfma_f64_16x16x4_f64 v[40+0:47+0], v[vgprG2LB+12+0:vgprG2LB+12+0+1], v[vgprValuA_X1_I0+0+0+0+2:vgprValuA_X1_I0+0+0+0+2+1], v[40:47]
 // Ci += Ai*Br
/*  mfmaIndex:62  */
_ds_load_b128 v[vgprValuA_X0_I0+8:vgprValuA_X0_I0+8+3], v[vgprLocalReadAddrA] offset:20992 // L -> Reg lro=1280 swapByteOffset=0 ti=16 vIdx=2 rIdx=0 oIdx=0 buffer=0 iui=0
v_mfma_f64_16x16x4_f64 v[0+0:7+0], v[vgprG2LB+12+0+2:vgprG2LB+12+0+2+1], v[246:247], v[0:7]
 // Cr += -Ai*Bi
/*  mfmaIndex:63  */
_ds_load_b128 v[vgprValuA_X0_I0+12:vgprValuA_X0_I0+12+3], v[vgprLocalReadAddrA] offset:21248 // L -> Reg lro=1280 swapByteOffset=0 ti=16 vIdx=3 rIdx=0 oIdx=0 buffer=0 iui=0
v_mfma_f64_16x16x4_f64 v[40+0:47+0], v[vgprG2LB+12+0+2:vgprG2LB+12+0+2+1], v[vgprValuA_X1_I0+0+0+0:vgprValuA_X1_I0+0+0+0+1], v[40:47]
 // Ci += Ar*Bi
/*  mfmaIndex:64  */
_ds_load_b128 v[vgprValuA_X0_I0+16:vgprValuA_X0_I0+16+3], v[vgprLocalReadAddrA] offset:21504 // L -> Reg lro=1280 swapByteOffset=0 ti=16 vIdx=4 rIdx=0 oIdx=0 buffer=0 iui=0
/* localReadsVacancy: latencyLeft 1 */
v_add_f64 v[246:247], -v[vgprValuA_X1_I0+4+0+0+2:vgprValuA_X1_I0+4+0+0+2+1], 0 // Ai=-Ai
v_mfma_f64_16x16x4_f64 v[8+0:15+0], v[vgprG2LB+12+0:vgprG2LB+12+0+1], v[vgprValuA_X1_I0+4+0+0:vgprValuA_X1_I0+4+0+0+1], v[8:15]
 // Cr += Ar*Br
/*  mfmaIndex:65  */
/* localReadsVacancy: latencyLeft 5 */
v_mfma_f64_16x16x4_f64 v[48+0:55+0], v[vgprG2LB+12+0:vgprG2LB+12+0+1], v[vgprValuA_X1_I0+4+0+0+2:vgprValuA_X1_I0+4+0+0+2+1], v[48:55]
 // Ci += Ai*Br
/*  mfmaIndex:66  */
/* localReadsVacancy: latencyLeft 5 */
v_mfma_f64_16x16x4_f64 v[8+0:15+0], v[vgprG2LB+12+0+2:vgprG2LB+12+0+2+1], v[246:247], v[8:15]
 // Cr += -Ai*Bi
/*  mfmaIndex:67  */
/* localReadsVacancy: latencyLeft 5 */
v_mfma_f64_16x16x4_f64 v[48+0:55+0], v[vgprG2LB+12+0+2:vgprG2LB+12+0+2+1], v[vgprValuA_X1_I0+4+0+0:vgprValuA_X1_I0+4+0+0+1], v[48:55]
 // Ci += Ar*Bi
/*  mfmaIndex:68  */
/* localReadsVacancy: latencyLeft 5 */
v_add_f64 v[246:247], -v[vgprValuA_X1_I0+8+0+0+2:vgprValuA_X1_I0+8+0+0+2+1], 0 // Ai=-Ai
v_mfma_f64_16x16x4_f64 v[16+0:23+0], v[vgprG2LB+12+0:vgprG2LB+12+0+1], v[vgprValuA_X1_I0+8+0+0:vgprValuA_X1_I0+8+0+0+1], v[16:23]
 // Cr += Ar*Br
/*  mfmaIndex:69  */
/* localReadsVacancy: latencyLeft 5 */
v_mfma_f64_16x16x4_f64 v[56+0:63+0], v[vgprG2LB+12+0:vgprG2LB+12+0+1], v[vgprValuA_X1_I0+8+0+0+2:vgprValuA_X1_I0+8+0+0+2+1], v[56:63]
 // Ci += Ai*Br
/*  mfmaIndex:70  */
/* localReadsVacancy: latencyLeft 5 */
v_mfma_f64_16x16x4_f64 v[16+0:23+0], v[vgprG2LB+12+0+2:vgprG2LB+12+0+2+1], v[246:247], v[16:23]
 // Cr += -Ai*Bi
/*  mfmaIndex:71  */
/* localReadsVacancy: latencyLeft 5 */
v_mfma_f64_16x16x4_f64 v[56+0:63+0], v[vgprG2LB+12+0+2:vgprG2LB+12+0+2+1], v[vgprValuA_X1_I0+8+0+0:vgprValuA_X1_I0+8+0+0+1], v[56:63]
 // Ci += Ar*Bi
/*  mfmaIndex:72  */
	;; [unrolled: 17-line block ×3, first 2 shown]
/* localReadsVacancy: latencyLeft 5 */
v_add_f64 v[246:247], -v[vgprValuA_X1_I0+16+0+0+2:vgprValuA_X1_I0+16+0+0+2+1], 0 // Ai=-Ai
v_mfma_f64_16x16x4_f64 v[32+0:39+0], v[vgprG2LB+12+0:vgprG2LB+12+0+1], v[vgprValuA_X1_I0+16+0+0:vgprValuA_X1_I0+16+0+0+1], v[32:39]
 // Cr += Ar*Br
/*  mfmaIndex:77  */
/* localReadsVacancy: latencyLeft 5 */
v_mfma_f64_16x16x4_f64 v[72+0:79+0], v[vgprG2LB+12+0:vgprG2LB+12+0+1], v[vgprValuA_X1_I0+16+0+0+2:vgprValuA_X1_I0+16+0+0+2+1], v[72:79]
 // Ci += Ai*Br
/*  mfmaIndex:78  */
/* localReadsVacancy: latencyLeft 5 */
v_mfma_f64_16x16x4_f64 v[32+0:39+0], v[vgprG2LB+12+0+2:vgprG2LB+12+0+2+1], v[246:247], v[32:39]
 // Cr += -Ai*Bi
/*  mfmaIndex:79  */
/* localReadsVacancy: latencyLeft 5 */
v_mfma_f64_16x16x4_f64 v[72+0:79+0], v[vgprG2LB+12+0+2:vgprG2LB+12+0+2+1], v[vgprValuA_X1_I0+16+0+0:vgprValuA_X1_I0+16+0+0+1], v[72:79]
 // Ci += Ar*Bi
/* numPrefetchIter=0 */
/* dataAtIterA=2 numReadsIterA=4 skipReadsIterA=1 readsPerIterA=5 */
/* dataAtIterB=2 numReadsIterB=4 skipReadsIterB=1 readsPerIterB=1 */


/* closeLoop loopL finalLoop=0 tailLoop=1 */
s_sub_i32 s[sgprLoopCounterL], s[sgprLoopCounterL], 0x4 // dec counterL (tailLoop)
s_add_u32 s[sgprOrigLoopCounter], s[sgprOrigLoopCounter], 0x4 // inc counterL
s_cmp_le_i32 s[sgprLoopCounterL], 0x0              // counterL<=0
s_cbranch_scc1 TailLoopEndL_OptNLL_oddexit_23      // exit LoopL


/* iter 4 (last unrolled loop) */

s_waitcnt vmcnt(3)                                 // lgkmcnt=-1 vmcnt=3global read wait for DirectToVgpr

/*  grEndMfmaIndex:0, lwStartMfmaIndex:139, lwEndMfmaIndex:139  */
/*  numMfmaForLR:10, barrierMfmaIndex:149, LocalWritePerMfma:1.060 */
/*  mfmaIndex:80  */
_ds_load_b128 v[vgprValuA_X1_I0+0:vgprValuA_X1_I0+0+3], v[vgprLocalReadAddrA] offset:25600 // L -> Reg lro=1600 swapByteOffset=0 ti=16 vIdx=0 rIdx=0 oIdx=0 buffer=1 iui=0
s_waitcnt lgkmcnt(1)                               // lgkmcnt=0 vmcnt=-1wait for prior local read local write old=0, new=1 newLW=0 newLR=1
v_add_f64 v[246:247], -v[vgprValuA_X0_I0+0+0+0+2:vgprValuA_X0_I0+0+0+0+2+1], 0 // Ai=-Ai
v_mfma_f64_16x16x4_f64 v[0+0:7+0], v[vgprG2LB+16+0:vgprG2LB+16+0+1], v[vgprValuA_X0_I0+0+0+0:vgprValuA_X0_I0+0+0+0+1], v[0:7]
 // Cr += Ar*Br
/*  mfmaIndex:81  */
_ds_load_b128 v[vgprValuA_X1_I0+4:vgprValuA_X1_I0+4+3], v[vgprLocalReadAddrA] offset:25856 // L -> Reg lro=1600 swapByteOffset=0 ti=16 vIdx=1 rIdx=0 oIdx=0 buffer=1 iui=0
v_mfma_f64_16x16x4_f64 v[40+0:47+0], v[vgprG2LB+16+0:vgprG2LB+16+0+1], v[vgprValuA_X0_I0+0+0+0+2:vgprValuA_X0_I0+0+0+0+2+1], v[40:47]
 // Ci += Ai*Br
/*  mfmaIndex:82  */
_ds_load_b128 v[vgprValuA_X1_I0+8:vgprValuA_X1_I0+8+3], v[vgprLocalReadAddrA] offset:26112 // L -> Reg lro=1600 swapByteOffset=0 ti=16 vIdx=2 rIdx=0 oIdx=0 buffer=1 iui=0
v_mfma_f64_16x16x4_f64 v[0+0:7+0], v[vgprG2LB+16+0+2:vgprG2LB+16+0+2+1], v[246:247], v[0:7]
 // Cr += -Ai*Bi
/*  mfmaIndex:83  */
_ds_load_b128 v[vgprValuA_X1_I0+12:vgprValuA_X1_I0+12+3], v[vgprLocalReadAddrA] offset:26368 // L -> Reg lro=1600 swapByteOffset=0 ti=16 vIdx=3 rIdx=0 oIdx=0 buffer=1 iui=0
v_mfma_f64_16x16x4_f64 v[40+0:47+0], v[vgprG2LB+16+0+2:vgprG2LB+16+0+2+1], v[vgprValuA_X0_I0+0+0+0:vgprValuA_X0_I0+0+0+0+1], v[40:47]
 // Ci += Ar*Bi
/*  mfmaIndex:84  */
_ds_load_b128 v[vgprValuA_X1_I0+16:vgprValuA_X1_I0+16+3], v[vgprLocalReadAddrA] offset:26624 // L -> Reg lro=1600 swapByteOffset=0 ti=16 vIdx=4 rIdx=0 oIdx=0 buffer=1 iui=0
/* localReadsVacancy: latencyLeft 1 */
v_add_f64 v[246:247], -v[vgprValuA_X0_I0+4+0+0+2:vgprValuA_X0_I0+4+0+0+2+1], 0 // Ai=-Ai
v_mfma_f64_16x16x4_f64 v[8+0:15+0], v[vgprG2LB+16+0:vgprG2LB+16+0+1], v[vgprValuA_X0_I0+4+0+0:vgprValuA_X0_I0+4+0+0+1], v[8:15]
 // Cr += Ar*Br
/*  mfmaIndex:85  */
/* localReadsVacancy: latencyLeft 5 */
v_mfma_f64_16x16x4_f64 v[48+0:55+0], v[vgprG2LB+16+0:vgprG2LB+16+0+1], v[vgprValuA_X0_I0+4+0+0+2:vgprValuA_X0_I0+4+0+0+2+1], v[48:55]
 // Ci += Ai*Br
/*  mfmaIndex:86  */
/* localReadsVacancy: latencyLeft 5 */
v_mfma_f64_16x16x4_f64 v[8+0:15+0], v[vgprG2LB+16+0+2:vgprG2LB+16+0+2+1], v[246:247], v[8:15]
 // Cr += -Ai*Bi
/*  mfmaIndex:87  */
/* localReadsVacancy: latencyLeft 5 */
v_mfma_f64_16x16x4_f64 v[48+0:55+0], v[vgprG2LB+16+0+2:vgprG2LB+16+0+2+1], v[vgprValuA_X0_I0+4+0+0:vgprValuA_X0_I0+4+0+0+1], v[48:55]
 // Ci += Ar*Bi
/*  mfmaIndex:88  */
/* localReadsVacancy: latencyLeft 5 */
v_add_f64 v[246:247], -v[vgprValuA_X0_I0+8+0+0+2:vgprValuA_X0_I0+8+0+0+2+1], 0 // Ai=-Ai
v_mfma_f64_16x16x4_f64 v[16+0:23+0], v[vgprG2LB+16+0:vgprG2LB+16+0+1], v[vgprValuA_X0_I0+8+0+0:vgprValuA_X0_I0+8+0+0+1], v[16:23]
 // Cr += Ar*Br
/*  mfmaIndex:89  */
/* localReadsVacancy: latencyLeft 5 */
v_mfma_f64_16x16x4_f64 v[56+0:63+0], v[vgprG2LB+16+0:vgprG2LB+16+0+1], v[vgprValuA_X0_I0+8+0+0+2:vgprValuA_X0_I0+8+0+0+2+1], v[56:63]
 // Ci += Ai*Br
/*  mfmaIndex:90  */
/* localReadsVacancy: latencyLeft 5 */
v_mfma_f64_16x16x4_f64 v[16+0:23+0], v[vgprG2LB+16+0+2:vgprG2LB+16+0+2+1], v[246:247], v[16:23]
 // Cr += -Ai*Bi
/*  mfmaIndex:91  */
/* localReadsVacancy: latencyLeft 5 */
v_mfma_f64_16x16x4_f64 v[56+0:63+0], v[vgprG2LB+16+0+2:vgprG2LB+16+0+2+1], v[vgprValuA_X0_I0+8+0+0:vgprValuA_X0_I0+8+0+0+1], v[56:63]
 // Ci += Ar*Bi
/*  mfmaIndex:92  */
	;; [unrolled: 17-line block ×3, first 2 shown]
/* localReadsVacancy: latencyLeft 5 */
v_add_f64 v[246:247], -v[vgprValuA_X0_I0+16+0+0+2:vgprValuA_X0_I0+16+0+0+2+1], 0 // Ai=-Ai
v_mfma_f64_16x16x4_f64 v[32+0:39+0], v[vgprG2LB+16+0:vgprG2LB+16+0+1], v[vgprValuA_X0_I0+16+0+0:vgprValuA_X0_I0+16+0+0+1], v[32:39]
 // Cr += Ar*Br
/*  mfmaIndex:97  */
/* localReadsVacancy: latencyLeft 5 */
v_mfma_f64_16x16x4_f64 v[72+0:79+0], v[vgprG2LB+16+0:vgprG2LB+16+0+1], v[vgprValuA_X0_I0+16+0+0+2:vgprValuA_X0_I0+16+0+0+2+1], v[72:79]
 // Ci += Ai*Br
/*  mfmaIndex:98  */
/* localReadsVacancy: latencyLeft 5 */
v_mfma_f64_16x16x4_f64 v[32+0:39+0], v[vgprG2LB+16+0+2:vgprG2LB+16+0+2+1], v[246:247], v[32:39]
 // Cr += -Ai*Bi
/*  mfmaIndex:99  */
/* localReadsVacancy: latencyLeft 5 */
v_mfma_f64_16x16x4_f64 v[72+0:79+0], v[vgprG2LB+16+0+2:vgprG2LB+16+0+2+1], v[vgprValuA_X0_I0+16+0+0:vgprValuA_X0_I0+16+0+0+1], v[72:79]
 // Ci += Ar*Bi
/* numPrefetchIter=0 */
/* dataAtIterA=3 numReadsIterA=5 skipReadsIterA=1 readsPerIterA=5 */
/* dataAtIterB=3 numReadsIterB=5 skipReadsIterB=1 readsPerIterB=1 */


/* closeLoop loopL finalLoop=0 tailLoop=1 */
s_sub_i32 s[sgprLoopCounterL], s[sgprLoopCounterL], 0x4 // dec counterL (tailLoop)
s_add_u32 s[sgprOrigLoopCounter], s[sgprOrigLoopCounter], 0x4 // inc counterL
s_cmp_le_i32 s[sgprLoopCounterL], 0x0              // counterL<=0
s_cbranch_scc1 TailLoopEndL_OptNLL_oddexit_23      // exit LoopL


/* iter 5 (last unrolled loop) */

s_waitcnt vmcnt(2)                                 // lgkmcnt=-1 vmcnt=2global read wait for DirectToVgpr

/*  grEndMfmaIndex:0, lwStartMfmaIndex:139, lwEndMfmaIndex:139  */
/*  numMfmaForLR:10, barrierMfmaIndex:149, LocalWritePerMfma:1.060 */
/*  mfmaIndex:100  */
_ds_load_b128 v[vgprValuA_X0_I0+0:vgprValuA_X0_I0+0+3], v[vgprLocalReadAddrA] offset:30720 // L -> Reg lro=1920 swapByteOffset=0 ti=16 vIdx=0 rIdx=0 oIdx=0 buffer=0 iui=0
s_waitcnt lgkmcnt(1)                               // lgkmcnt=0 vmcnt=-1wait for prior local read local write old=0, new=1 newLW=0 newLR=1
v_add_f64 v[246:247], -v[vgprValuA_X1_I0+0+0+0+2:vgprValuA_X1_I0+0+0+0+2+1], 0 // Ai=-Ai
v_mfma_f64_16x16x4_f64 v[0+0:7+0], v[vgprG2LB+20+0:vgprG2LB+20+0+1], v[vgprValuA_X1_I0+0+0+0:vgprValuA_X1_I0+0+0+0+1], v[0:7]
 // Cr += Ar*Br
/*  mfmaIndex:101  */
_ds_load_b128 v[vgprValuA_X0_I0+4:vgprValuA_X0_I0+4+3], v[vgprLocalReadAddrA] offset:30976 // L -> Reg lro=1920 swapByteOffset=0 ti=16 vIdx=1 rIdx=0 oIdx=0 buffer=0 iui=0
v_mfma_f64_16x16x4_f64 v[40+0:47+0], v[vgprG2LB+20+0:vgprG2LB+20+0+1], v[vgprValuA_X1_I0+0+0+0+2:vgprValuA_X1_I0+0+0+0+2+1], v[40:47]
 // Ci += Ai*Br
/*  mfmaIndex:102  */
_ds_load_b128 v[vgprValuA_X0_I0+8:vgprValuA_X0_I0+8+3], v[vgprLocalReadAddrA] offset:31232 // L -> Reg lro=1920 swapByteOffset=0 ti=16 vIdx=2 rIdx=0 oIdx=0 buffer=0 iui=0
v_mfma_f64_16x16x4_f64 v[0+0:7+0], v[vgprG2LB+20+0+2:vgprG2LB+20+0+2+1], v[246:247], v[0:7]
 // Cr += -Ai*Bi
/*  mfmaIndex:103  */
_ds_load_b128 v[vgprValuA_X0_I0+12:vgprValuA_X0_I0+12+3], v[vgprLocalReadAddrA] offset:31488 // L -> Reg lro=1920 swapByteOffset=0 ti=16 vIdx=3 rIdx=0 oIdx=0 buffer=0 iui=0
v_mfma_f64_16x16x4_f64 v[40+0:47+0], v[vgprG2LB+20+0+2:vgprG2LB+20+0+2+1], v[vgprValuA_X1_I0+0+0+0:vgprValuA_X1_I0+0+0+0+1], v[40:47]
 // Ci += Ar*Bi
/*  mfmaIndex:104  */
_ds_load_b128 v[vgprValuA_X0_I0+16:vgprValuA_X0_I0+16+3], v[vgprLocalReadAddrA] offset:31744 // L -> Reg lro=1920 swapByteOffset=0 ti=16 vIdx=4 rIdx=0 oIdx=0 buffer=0 iui=0
/* localReadsVacancy: latencyLeft 1 */
v_add_f64 v[246:247], -v[vgprValuA_X1_I0+4+0+0+2:vgprValuA_X1_I0+4+0+0+2+1], 0 // Ai=-Ai
v_mfma_f64_16x16x4_f64 v[8+0:15+0], v[vgprG2LB+20+0:vgprG2LB+20+0+1], v[vgprValuA_X1_I0+4+0+0:vgprValuA_X1_I0+4+0+0+1], v[8:15]
 // Cr += Ar*Br
/*  mfmaIndex:105  */
/* localReadsVacancy: latencyLeft 5 */
v_mfma_f64_16x16x4_f64 v[48+0:55+0], v[vgprG2LB+20+0:vgprG2LB+20+0+1], v[vgprValuA_X1_I0+4+0+0+2:vgprValuA_X1_I0+4+0+0+2+1], v[48:55]
 // Ci += Ai*Br
/*  mfmaIndex:106  */
/* localReadsVacancy: latencyLeft 5 */
v_mfma_f64_16x16x4_f64 v[8+0:15+0], v[vgprG2LB+20+0+2:vgprG2LB+20+0+2+1], v[246:247], v[8:15]
 // Cr += -Ai*Bi
/*  mfmaIndex:107  */
/* localReadsVacancy: latencyLeft 5 */
v_mfma_f64_16x16x4_f64 v[48+0:55+0], v[vgprG2LB+20+0+2:vgprG2LB+20+0+2+1], v[vgprValuA_X1_I0+4+0+0:vgprValuA_X1_I0+4+0+0+1], v[48:55]
 // Ci += Ar*Bi
/*  mfmaIndex:108  */
/* localReadsVacancy: latencyLeft 5 */
v_add_f64 v[246:247], -v[vgprValuA_X1_I0+8+0+0+2:vgprValuA_X1_I0+8+0+0+2+1], 0 // Ai=-Ai
v_mfma_f64_16x16x4_f64 v[16+0:23+0], v[vgprG2LB+20+0:vgprG2LB+20+0+1], v[vgprValuA_X1_I0+8+0+0:vgprValuA_X1_I0+8+0+0+1], v[16:23]
 // Cr += Ar*Br
/*  mfmaIndex:109  */
/* localReadsVacancy: latencyLeft 5 */
v_mfma_f64_16x16x4_f64 v[56+0:63+0], v[vgprG2LB+20+0:vgprG2LB+20+0+1], v[vgprValuA_X1_I0+8+0+0+2:vgprValuA_X1_I0+8+0+0+2+1], v[56:63]
 // Ci += Ai*Br
/*  mfmaIndex:110  */
/* localReadsVacancy: latencyLeft 5 */
v_mfma_f64_16x16x4_f64 v[16+0:23+0], v[vgprG2LB+20+0+2:vgprG2LB+20+0+2+1], v[246:247], v[16:23]
 // Cr += -Ai*Bi
/*  mfmaIndex:111  */
/* localReadsVacancy: latencyLeft 5 */
v_mfma_f64_16x16x4_f64 v[56+0:63+0], v[vgprG2LB+20+0+2:vgprG2LB+20+0+2+1], v[vgprValuA_X1_I0+8+0+0:vgprValuA_X1_I0+8+0+0+1], v[56:63]
 // Ci += Ar*Bi
/*  mfmaIndex:112  */
	;; [unrolled: 17-line block ×3, first 2 shown]
/* localReadsVacancy: latencyLeft 5 */
v_add_f64 v[246:247], -v[vgprValuA_X1_I0+16+0+0+2:vgprValuA_X1_I0+16+0+0+2+1], 0 // Ai=-Ai
v_mfma_f64_16x16x4_f64 v[32+0:39+0], v[vgprG2LB+20+0:vgprG2LB+20+0+1], v[vgprValuA_X1_I0+16+0+0:vgprValuA_X1_I0+16+0+0+1], v[32:39]
 // Cr += Ar*Br
/*  mfmaIndex:117  */
/* localReadsVacancy: latencyLeft 5 */
v_mfma_f64_16x16x4_f64 v[72+0:79+0], v[vgprG2LB+20+0:vgprG2LB+20+0+1], v[vgprValuA_X1_I0+16+0+0+2:vgprValuA_X1_I0+16+0+0+2+1], v[72:79]
 // Ci += Ai*Br
/*  mfmaIndex:118  */
/* localReadsVacancy: latencyLeft 5 */
v_mfma_f64_16x16x4_f64 v[32+0:39+0], v[vgprG2LB+20+0+2:vgprG2LB+20+0+2+1], v[246:247], v[32:39]
 // Cr += -Ai*Bi
/*  mfmaIndex:119  */
/* localReadsVacancy: latencyLeft 5 */
v_mfma_f64_16x16x4_f64 v[72+0:79+0], v[vgprG2LB+20+0+2:vgprG2LB+20+0+2+1], v[vgprValuA_X1_I0+16+0+0:vgprValuA_X1_I0+16+0+0+1], v[72:79]
 // Ci += Ar*Bi
/* numPrefetchIter=0 */
/* dataAtIterA=4 numReadsIterA=6 skipReadsIterA=1 readsPerIterA=5 */
/* dataAtIterB=4 numReadsIterB=6 skipReadsIterB=1 readsPerIterB=1 */


/* closeLoop loopL finalLoop=0 tailLoop=1 */
s_sub_i32 s[sgprLoopCounterL], s[sgprLoopCounterL], 0x4 // dec counterL (tailLoop)
s_add_u32 s[sgprOrigLoopCounter], s[sgprOrigLoopCounter], 0x4 // inc counterL
s_cmp_le_i32 s[sgprLoopCounterL], 0x0              // counterL<=0
s_cbranch_scc1 TailLoopEndL_OptNLL_oddexit_23      // exit LoopL


/* iter 6 (last unrolled loop) */

s_waitcnt vmcnt(1)                                 // lgkmcnt=-1 vmcnt=1global read wait for DirectToVgpr

/*  grEndMfmaIndex:0, lwStartMfmaIndex:139, lwEndMfmaIndex:139  */
/*  numMfmaForLR:10, barrierMfmaIndex:149, LocalWritePerMfma:1.060 */
/*  mfmaIndex:120  */
_ds_load_b128 v[vgprValuA_X1_I0+0:vgprValuA_X1_I0+0+3], v[vgprLocalReadAddrA] offset:35840 // L -> Reg lro=2240 swapByteOffset=0 ti=16 vIdx=0 rIdx=0 oIdx=0 buffer=1 iui=0
s_waitcnt lgkmcnt(1)                               // lgkmcnt=0 vmcnt=-1wait for prior local read local write old=0, new=1 newLW=0 newLR=1
v_add_f64 v[246:247], -v[vgprValuA_X0_I0+0+0+0+2:vgprValuA_X0_I0+0+0+0+2+1], 0 // Ai=-Ai
v_mfma_f64_16x16x4_f64 v[0+0:7+0], v[vgprG2LB+24+0:vgprG2LB+24+0+1], v[vgprValuA_X0_I0+0+0+0:vgprValuA_X0_I0+0+0+0+1], v[0:7]
 // Cr += Ar*Br
/*  mfmaIndex:121  */
_ds_load_b128 v[vgprValuA_X1_I0+4:vgprValuA_X1_I0+4+3], v[vgprLocalReadAddrA] offset:36096 // L -> Reg lro=2240 swapByteOffset=0 ti=16 vIdx=1 rIdx=0 oIdx=0 buffer=1 iui=0
v_mfma_f64_16x16x4_f64 v[40+0:47+0], v[vgprG2LB+24+0:vgprG2LB+24+0+1], v[vgprValuA_X0_I0+0+0+0+2:vgprValuA_X0_I0+0+0+0+2+1], v[40:47]
 // Ci += Ai*Br
/*  mfmaIndex:122  */
_ds_load_b128 v[vgprValuA_X1_I0+8:vgprValuA_X1_I0+8+3], v[vgprLocalReadAddrA] offset:36352 // L -> Reg lro=2240 swapByteOffset=0 ti=16 vIdx=2 rIdx=0 oIdx=0 buffer=1 iui=0
v_mfma_f64_16x16x4_f64 v[0+0:7+0], v[vgprG2LB+24+0+2:vgprG2LB+24+0+2+1], v[246:247], v[0:7]
 // Cr += -Ai*Bi
/*  mfmaIndex:123  */
_ds_load_b128 v[vgprValuA_X1_I0+12:vgprValuA_X1_I0+12+3], v[vgprLocalReadAddrA] offset:36608 // L -> Reg lro=2240 swapByteOffset=0 ti=16 vIdx=3 rIdx=0 oIdx=0 buffer=1 iui=0
v_mfma_f64_16x16x4_f64 v[40+0:47+0], v[vgprG2LB+24+0+2:vgprG2LB+24+0+2+1], v[vgprValuA_X0_I0+0+0+0:vgprValuA_X0_I0+0+0+0+1], v[40:47]
 // Ci += Ar*Bi
/*  mfmaIndex:124  */
_ds_load_b128 v[vgprValuA_X1_I0+16:vgprValuA_X1_I0+16+3], v[vgprLocalReadAddrA] offset:36864 // L -> Reg lro=2240 swapByteOffset=0 ti=16 vIdx=4 rIdx=0 oIdx=0 buffer=1 iui=0
/* localReadsVacancy: latencyLeft 1 */
v_add_f64 v[246:247], -v[vgprValuA_X0_I0+4+0+0+2:vgprValuA_X0_I0+4+0+0+2+1], 0 // Ai=-Ai
v_mfma_f64_16x16x4_f64 v[8+0:15+0], v[vgprG2LB+24+0:vgprG2LB+24+0+1], v[vgprValuA_X0_I0+4+0+0:vgprValuA_X0_I0+4+0+0+1], v[8:15]
 // Cr += Ar*Br
/*  mfmaIndex:125  */
/* localReadsVacancy: latencyLeft 5 */
v_mfma_f64_16x16x4_f64 v[48+0:55+0], v[vgprG2LB+24+0:vgprG2LB+24+0+1], v[vgprValuA_X0_I0+4+0+0+2:vgprValuA_X0_I0+4+0+0+2+1], v[48:55]
 // Ci += Ai*Br
/*  mfmaIndex:126  */
/* localReadsVacancy: latencyLeft 5 */
v_mfma_f64_16x16x4_f64 v[8+0:15+0], v[vgprG2LB+24+0+2:vgprG2LB+24+0+2+1], v[246:247], v[8:15]
 // Cr += -Ai*Bi
/*  mfmaIndex:127  */
/* localReadsVacancy: latencyLeft 5 */
v_mfma_f64_16x16x4_f64 v[48+0:55+0], v[vgprG2LB+24+0+2:vgprG2LB+24+0+2+1], v[vgprValuA_X0_I0+4+0+0:vgprValuA_X0_I0+4+0+0+1], v[48:55]
 // Ci += Ar*Bi
/*  mfmaIndex:128  */
/* localReadsVacancy: latencyLeft 5 */
v_add_f64 v[246:247], -v[vgprValuA_X0_I0+8+0+0+2:vgprValuA_X0_I0+8+0+0+2+1], 0 // Ai=-Ai
v_mfma_f64_16x16x4_f64 v[16+0:23+0], v[vgprG2LB+24+0:vgprG2LB+24+0+1], v[vgprValuA_X0_I0+8+0+0:vgprValuA_X0_I0+8+0+0+1], v[16:23]
 // Cr += Ar*Br
/*  mfmaIndex:129  */
/* localReadsVacancy: latencyLeft 5 */
v_mfma_f64_16x16x4_f64 v[56+0:63+0], v[vgprG2LB+24+0:vgprG2LB+24+0+1], v[vgprValuA_X0_I0+8+0+0+2:vgprValuA_X0_I0+8+0+0+2+1], v[56:63]
 // Ci += Ai*Br
/*  mfmaIndex:130  */
/* localReadsVacancy: latencyLeft 5 */
v_mfma_f64_16x16x4_f64 v[16+0:23+0], v[vgprG2LB+24+0+2:vgprG2LB+24+0+2+1], v[246:247], v[16:23]
 // Cr += -Ai*Bi
/*  mfmaIndex:131  */
/* localReadsVacancy: latencyLeft 5 */
v_mfma_f64_16x16x4_f64 v[56+0:63+0], v[vgprG2LB+24+0+2:vgprG2LB+24+0+2+1], v[vgprValuA_X0_I0+8+0+0:vgprValuA_X0_I0+8+0+0+1], v[56:63]
 // Ci += Ar*Bi
/*  mfmaIndex:132  */
	;; [unrolled: 17-line block ×3, first 2 shown]
/* localReadsVacancy: latencyLeft 5 */
v_add_f64 v[246:247], -v[vgprValuA_X0_I0+16+0+0+2:vgprValuA_X0_I0+16+0+0+2+1], 0 // Ai=-Ai
v_mfma_f64_16x16x4_f64 v[32+0:39+0], v[vgprG2LB+24+0:vgprG2LB+24+0+1], v[vgprValuA_X0_I0+16+0+0:vgprValuA_X0_I0+16+0+0+1], v[32:39]
 // Cr += Ar*Br
/*  mfmaIndex:137  */
/* localReadsVacancy: latencyLeft 5 */
v_mfma_f64_16x16x4_f64 v[72+0:79+0], v[vgprG2LB+24+0:vgprG2LB+24+0+1], v[vgprValuA_X0_I0+16+0+0+2:vgprValuA_X0_I0+16+0+0+2+1], v[72:79]
 // Ci += Ai*Br
/*  mfmaIndex:138  */
/* localReadsVacancy: latencyLeft 5 */
/* 1 LDS buffer: read-sync-write */
s_waitcnt lgkmcnt(0)                               // 
s_barrier                                          // 
v_mfma_f64_16x16x4_f64 v[32+0:39+0], v[vgprG2LB+24+0+2:vgprG2LB+24+0+2+1], v[246:247], v[32:39]
 // Cr += -Ai*Bi
/*  mfmaIndex:139  */
/* localReadsVacancy: latencyLeft 5 */
v_mfma_f64_16x16x4_f64 v[72+0:79+0], v[vgprG2LB+24+0+2:vgprG2LB+24+0+2+1], v[vgprValuA_X0_I0+16+0+0:vgprValuA_X0_I0+16+0+0+1], v[72:79]
 // Ci += Ar*Bi
/* numPrefetchIter=0 */
/* dataAtIterA=5 numReadsIterA=7 skipReadsIterA=1 readsPerIterA=5 */
/* dataAtIterB=5 numReadsIterB=7 skipReadsIterB=1 readsPerIterB=1 */


/* closeLoop loopL finalLoop=0 tailLoop=1 */
s_sub_i32 s[sgprLoopCounterL], s[sgprLoopCounterL], 0x4 // dec counterL (tailLoop)
s_add_u32 s[sgprOrigLoopCounter], s[sgprOrigLoopCounter], 0x4 // inc counterL
s_cmp_le_i32 s[sgprLoopCounterL], 0x0              // counterL<=0
s_cbranch_scc1 TailLoopEndL_OptNLL_oddexit_23      // exit LoopL


/* iter 7 (last unrolled loop) */

s_waitcnt vmcnt(0)                                 // lgkmcnt=-1 vmcnt=0global read wait for DirectToVgpr

/*  grEndMfmaIndex:0, lwStartMfmaIndex:139, lwEndMfmaIndex:139  */
/*  numMfmaForLR:10, barrierMfmaIndex:149, LocalWritePerMfma:1.060 */
/*  mfmaIndex:140  */
s_waitcnt lgkmcnt(0)                               // lgkmcnt=0 vmcnt=-1wait for prior local read local write old=0, new=0 newLW=0 newLR=0
v_add_f64 v[246:247], -v[vgprValuA_X1_I0+0+0+0+2:vgprValuA_X1_I0+0+0+0+2+1], 0 // Ai=-Ai
v_mfma_f64_16x16x4_f64 v[0+0:7+0], v[vgprG2LB+28+0:vgprG2LB+28+0+1], v[vgprValuA_X1_I0+0+0+0:vgprValuA_X1_I0+0+0+0+1], v[0:7]
 // Cr += Ar*Br
/*  mfmaIndex:141  */
v_mfma_f64_16x16x4_f64 v[40+0:47+0], v[vgprG2LB+28+0:vgprG2LB+28+0+1], v[vgprValuA_X1_I0+0+0+0+2:vgprValuA_X1_I0+0+0+0+2+1], v[40:47]
 // Ci += Ai*Br
/*  mfmaIndex:142  */
v_mfma_f64_16x16x4_f64 v[0+0:7+0], v[vgprG2LB+28+0+2:vgprG2LB+28+0+2+1], v[246:247], v[0:7]
 // Cr += -Ai*Bi
/*  mfmaIndex:143  */
v_mfma_f64_16x16x4_f64 v[40+0:47+0], v[vgprG2LB+28+0+2:vgprG2LB+28+0+2+1], v[vgprValuA_X1_I0+0+0+0:vgprValuA_X1_I0+0+0+0+1], v[40:47]
 // Ci += Ar*Bi
/*  mfmaIndex:144  */
v_add_f64 v[246:247], -v[vgprValuA_X1_I0+4+0+0+2:vgprValuA_X1_I0+4+0+0+2+1], 0 // Ai=-Ai
v_mfma_f64_16x16x4_f64 v[8+0:15+0], v[vgprG2LB+28+0:vgprG2LB+28+0+1], v[vgprValuA_X1_I0+4+0+0:vgprValuA_X1_I0+4+0+0+1], v[8:15]
 // Cr += Ar*Br
/*  mfmaIndex:145  */
v_mfma_f64_16x16x4_f64 v[48+0:55+0], v[vgprG2LB+28+0:vgprG2LB+28+0+1], v[vgprValuA_X1_I0+4+0+0+2:vgprValuA_X1_I0+4+0+0+2+1], v[48:55]
 // Ci += Ai*Br
/*  mfmaIndex:146  */
v_mfma_f64_16x16x4_f64 v[8+0:15+0], v[vgprG2LB+28+0+2:vgprG2LB+28+0+2+1], v[246:247], v[8:15]
 // Cr += -Ai*Bi
/*  mfmaIndex:147  */
v_mfma_f64_16x16x4_f64 v[48+0:55+0], v[vgprG2LB+28+0+2:vgprG2LB+28+0+2+1], v[vgprValuA_X1_I0+4+0+0:vgprValuA_X1_I0+4+0+0+1], v[48:55]
 // Ci += Ar*Bi
/*  mfmaIndex:148  */
	;; [unrolled: 13-line block ×4, first 2 shown]
v_add_f64 v[246:247], -v[vgprValuA_X1_I0+16+0+0+2:vgprValuA_X1_I0+16+0+0+2+1], 0 // Ai=-Ai
v_mfma_f64_16x16x4_f64 v[32+0:39+0], v[vgprG2LB+28+0:vgprG2LB+28+0+1], v[vgprValuA_X1_I0+16+0+0:vgprValuA_X1_I0+16+0+0+1], v[32:39]
 // Cr += Ar*Br
/*  mfmaIndex:157  */
v_mfma_f64_16x16x4_f64 v[72+0:79+0], v[vgprG2LB+28+0:vgprG2LB+28+0+1], v[vgprValuA_X1_I0+16+0+0+2:vgprValuA_X1_I0+16+0+0+2+1], v[72:79]
 // Ci += Ai*Br
/*  mfmaIndex:158  */
v_mfma_f64_16x16x4_f64 v[32+0:39+0], v[vgprG2LB+28+0+2:vgprG2LB+28+0+2+1], v[246:247], v[32:39]
 // Cr += -Ai*Bi
/*  mfmaIndex:159  */
v_mfma_f64_16x16x4_f64 v[72+0:79+0], v[vgprG2LB+28+0+2:vgprG2LB+28+0+2+1], v[vgprValuA_X1_I0+16+0+0:vgprValuA_X1_I0+16+0+0+1], v[72:79]
 // Ci += Ar*Bi
/* numPrefetchIter=0 */
/* dataAtIterA=6 numReadsIterA=7 skipReadsIterA=0 readsPerIterA=5 */
/* dataAtIterB=6 numReadsIterB=7 skipReadsIterB=0 readsPerIterB=1 */

TailLoopEndL_OptNLL_oddexit_23:

s_branch label_0025                                // Skip even code
label_0020: // EvenStartNoLoadLoopOpt 



/* iter 0 (last unrolled loop) */

s_waitcnt vmcnt(7)                                 // lgkmcnt=-1 vmcnt=7global read wait for DirectToVgpr

/*  grEndMfmaIndex:0, lwStartMfmaIndex:139, lwEndMfmaIndex:139  */
/*  numMfmaForLR:10, barrierMfmaIndex:149, LocalWritePerMfma:1.060 */
/*  mfmaIndex:0  */
s_waitcnt lgkmcnt(0)                               // lgkmcnt=0 vmcnt=-1wait for prior local read local write old=0, new=0 newLW=0 newLR=0
v_add_f64 v[246:247], -v[vgprValuA_X0_I0+0+0+0+2:vgprValuA_X0_I0+0+0+0+2+1], 0 // Ai=-Ai
v_mfma_f64_16x16x4_f64 v[0+0:7+0], v[vgprG2LB+32+0:vgprG2LB+32+0+1], v[vgprValuA_X0_I0+0+0+0:vgprValuA_X0_I0+0+0+0+1], v[0:7]
 // Cr += Ar*Br
/*  mfmaIndex:1  */
_ds_load_b128 v[vgprValuA_X1_I0+0:vgprValuA_X1_I0+0+3], v[vgprLocalReadAddrA] offset:5120 // L -> Reg lro=320 swapByteOffset=0 ti=16 vIdx=0 rIdx=0 oIdx=0 buffer=1 iui=0
v_mfma_f64_16x16x4_f64 v[40+0:47+0], v[vgprG2LB+32+0:vgprG2LB+32+0+1], v[vgprValuA_X0_I0+0+0+0+2:vgprValuA_X0_I0+0+0+0+2+1], v[40:47]
 // Ci += Ai*Br
/*  mfmaIndex:2  */
_ds_load_b128 v[vgprValuA_X1_I0+4:vgprValuA_X1_I0+4+3], v[vgprLocalReadAddrA] offset:5376 // L -> Reg lro=320 swapByteOffset=0 ti=16 vIdx=1 rIdx=0 oIdx=0 buffer=1 iui=0
v_mfma_f64_16x16x4_f64 v[0+0:7+0], v[vgprG2LB+32+0+2:vgprG2LB+32+0+2+1], v[246:247], v[0:7]
 // Cr += -Ai*Bi
/*  mfmaIndex:3  */
_ds_load_b128 v[vgprValuA_X1_I0+8:vgprValuA_X1_I0+8+3], v[vgprLocalReadAddrA] offset:5632 // L -> Reg lro=320 swapByteOffset=0 ti=16 vIdx=2 rIdx=0 oIdx=0 buffer=1 iui=0
v_mfma_f64_16x16x4_f64 v[40+0:47+0], v[vgprG2LB+32+0+2:vgprG2LB+32+0+2+1], v[vgprValuA_X0_I0+0+0+0:vgprValuA_X0_I0+0+0+0+1], v[40:47]
 // Ci += Ar*Bi
/*  mfmaIndex:4  */
_ds_load_b128 v[vgprValuA_X1_I0+12:vgprValuA_X1_I0+12+3], v[vgprLocalReadAddrA] offset:5888 // L -> Reg lro=320 swapByteOffset=0 ti=16 vIdx=3 rIdx=0 oIdx=0 buffer=1 iui=0
v_add_f64 v[246:247], -v[vgprValuA_X0_I0+4+0+0+2:vgprValuA_X0_I0+4+0+0+2+1], 0 // Ai=-Ai
v_mfma_f64_16x16x4_f64 v[8+0:15+0], v[vgprG2LB+32+0:vgprG2LB+32+0+1], v[vgprValuA_X0_I0+4+0+0:vgprValuA_X0_I0+4+0+0+1], v[8:15]
 // Cr += Ar*Br
/*  mfmaIndex:5  */
_ds_load_b128 v[vgprValuA_X1_I0+16:vgprValuA_X1_I0+16+3], v[vgprLocalReadAddrA] offset:6144 // L -> Reg lro=320 swapByteOffset=0 ti=16 vIdx=4 rIdx=0 oIdx=0 buffer=1 iui=0
/* localReadsVacancy: latencyLeft 1 */
v_mfma_f64_16x16x4_f64 v[48+0:55+0], v[vgprG2LB+32+0:vgprG2LB+32+0+1], v[vgprValuA_X0_I0+4+0+0+2:vgprValuA_X0_I0+4+0+0+2+1], v[48:55]
 // Ci += Ai*Br
/*  mfmaIndex:6  */
/* localReadsVacancy: latencyLeft 5 */
v_mfma_f64_16x16x4_f64 v[8+0:15+0], v[vgprG2LB+32+0+2:vgprG2LB+32+0+2+1], v[246:247], v[8:15]
 // Cr += -Ai*Bi
/*  mfmaIndex:7  */
/* localReadsVacancy: latencyLeft 5 */
v_mfma_f64_16x16x4_f64 v[48+0:55+0], v[vgprG2LB+32+0+2:vgprG2LB+32+0+2+1], v[vgprValuA_X0_I0+4+0+0:vgprValuA_X0_I0+4+0+0+1], v[48:55]
 // Ci += Ar*Bi
/*  mfmaIndex:8  */
/* localReadsVacancy: latencyLeft 5 */
v_add_f64 v[246:247], -v[vgprValuA_X0_I0+8+0+0+2:vgprValuA_X0_I0+8+0+0+2+1], 0 // Ai=-Ai
v_mfma_f64_16x16x4_f64 v[16+0:23+0], v[vgprG2LB+32+0:vgprG2LB+32+0+1], v[vgprValuA_X0_I0+8+0+0:vgprValuA_X0_I0+8+0+0+1], v[16:23]
 // Cr += Ar*Br
/*  mfmaIndex:9  */
/* localReadsVacancy: latencyLeft 5 */
v_mfma_f64_16x16x4_f64 v[56+0:63+0], v[vgprG2LB+32+0:vgprG2LB+32+0+1], v[vgprValuA_X0_I0+8+0+0+2:vgprValuA_X0_I0+8+0+0+2+1], v[56:63]
 // Ci += Ai*Br
/*  mfmaIndex:10  */
/* localReadsVacancy: latencyLeft 5 */
v_mfma_f64_16x16x4_f64 v[16+0:23+0], v[vgprG2LB+32+0+2:vgprG2LB+32+0+2+1], v[246:247], v[16:23]
 // Cr += -Ai*Bi
/*  mfmaIndex:11  */
/* localReadsVacancy: latencyLeft 5 */
v_mfma_f64_16x16x4_f64 v[56+0:63+0], v[vgprG2LB+32+0+2:vgprG2LB+32+0+2+1], v[vgprValuA_X0_I0+8+0+0:vgprValuA_X0_I0+8+0+0+1], v[56:63]
 // Ci += Ar*Bi
/*  mfmaIndex:12  */
/* localReadsVacancy: latencyLeft 5 */
v_add_f64 v[246:247], -v[vgprValuA_X0_I0+12+0+0+2:vgprValuA_X0_I0+12+0+0+2+1], 0 // Ai=-Ai
v_mfma_f64_16x16x4_f64 v[24+0:31+0], v[vgprG2LB+32+0:vgprG2LB+32+0+1], v[vgprValuA_X0_I0+12+0+0:vgprValuA_X0_I0+12+0+0+1], v[24:31]
 // Cr += Ar*Br
/*  mfmaIndex:13  */
	;; [unrolled: 17-line block ×3, first 2 shown]
/* localReadsVacancy: latencyLeft 5 */
v_mfma_f64_16x16x4_f64 v[72+0:79+0], v[vgprG2LB+32+0:vgprG2LB+32+0+1], v[vgprValuA_X0_I0+16+0+0+2:vgprValuA_X0_I0+16+0+0+2+1], v[72:79]
 // Ci += Ai*Br
/*  mfmaIndex:18  */
/* localReadsVacancy: latencyLeft 5 */
v_mfma_f64_16x16x4_f64 v[32+0:39+0], v[vgprG2LB+32+0+2:vgprG2LB+32+0+2+1], v[246:247], v[32:39]
 // Cr += -Ai*Bi
/*  mfmaIndex:19  */
/* localReadsVacancy: latencyLeft 5 */
v_mfma_f64_16x16x4_f64 v[72+0:79+0], v[vgprG2LB+32+0+2:vgprG2LB+32+0+2+1], v[vgprValuA_X0_I0+16+0+0:vgprValuA_X0_I0+16+0+0+1], v[72:79]
 // Ci += Ar*Bi
/* numPrefetchIter=0 */
/* dataAtIterA=-1 numReadsIterA=1 skipReadsIterA=1 readsPerIterA=5 */
/* dataAtIterB=-1 numReadsIterB=1 skipReadsIterB=1 readsPerIterB=1 */


/* closeLoop loopL finalLoop=0 tailLoop=1 */
s_sub_i32 s[sgprLoopCounterL], s[sgprLoopCounterL], 0x4 // dec counterL (tailLoop)
s_add_u32 s[sgprOrigLoopCounter], s[sgprOrigLoopCounter], 0x4 // inc counterL
s_cmp_le_i32 s[sgprLoopCounterL], 0x0              // counterL<=0
s_cbranch_scc1 TailLoopEndL_OptNLL_22              // exit LoopL


/* iter 1 (last unrolled loop) */

s_waitcnt vmcnt(6)                                 // lgkmcnt=-1 vmcnt=6global read wait for DirectToVgpr

/*  grEndMfmaIndex:0, lwStartMfmaIndex:139, lwEndMfmaIndex:139  */
/*  numMfmaForLR:10, barrierMfmaIndex:149, LocalWritePerMfma:1.060 */
/*  mfmaIndex:20  */
_ds_load_b128 v[vgprValuA_X0_I0+0:vgprValuA_X0_I0+0+3], v[vgprLocalReadAddrA] offset:10240 // L -> Reg lro=640 swapByteOffset=0 ti=16 vIdx=0 rIdx=0 oIdx=0 buffer=0 iui=0
s_waitcnt lgkmcnt(1)                               // lgkmcnt=0 vmcnt=-1wait for prior local read local write old=0, new=1 newLW=0 newLR=1
v_add_f64 v[246:247], -v[vgprValuA_X1_I0+0+0+0+2:vgprValuA_X1_I0+0+0+0+2+1], 0 // Ai=-Ai
v_mfma_f64_16x16x4_f64 v[0+0:7+0], v[vgprG2LB+36+0:vgprG2LB+36+0+1], v[vgprValuA_X1_I0+0+0+0:vgprValuA_X1_I0+0+0+0+1], v[0:7]
 // Cr += Ar*Br
/*  mfmaIndex:21  */
_ds_load_b128 v[vgprValuA_X0_I0+4:vgprValuA_X0_I0+4+3], v[vgprLocalReadAddrA] offset:10496 // L -> Reg lro=640 swapByteOffset=0 ti=16 vIdx=1 rIdx=0 oIdx=0 buffer=0 iui=0
v_mfma_f64_16x16x4_f64 v[40+0:47+0], v[vgprG2LB+36+0:vgprG2LB+36+0+1], v[vgprValuA_X1_I0+0+0+0+2:vgprValuA_X1_I0+0+0+0+2+1], v[40:47]
 // Ci += Ai*Br
/*  mfmaIndex:22  */
_ds_load_b128 v[vgprValuA_X0_I0+8:vgprValuA_X0_I0+8+3], v[vgprLocalReadAddrA] offset:10752 // L -> Reg lro=640 swapByteOffset=0 ti=16 vIdx=2 rIdx=0 oIdx=0 buffer=0 iui=0
v_mfma_f64_16x16x4_f64 v[0+0:7+0], v[vgprG2LB+36+0+2:vgprG2LB+36+0+2+1], v[246:247], v[0:7]
 // Cr += -Ai*Bi
/*  mfmaIndex:23  */
_ds_load_b128 v[vgprValuA_X0_I0+12:vgprValuA_X0_I0+12+3], v[vgprLocalReadAddrA] offset:11008 // L -> Reg lro=640 swapByteOffset=0 ti=16 vIdx=3 rIdx=0 oIdx=0 buffer=0 iui=0
v_mfma_f64_16x16x4_f64 v[40+0:47+0], v[vgprG2LB+36+0+2:vgprG2LB+36+0+2+1], v[vgprValuA_X1_I0+0+0+0:vgprValuA_X1_I0+0+0+0+1], v[40:47]
 // Ci += Ar*Bi
/*  mfmaIndex:24  */
_ds_load_b128 v[vgprValuA_X0_I0+16:vgprValuA_X0_I0+16+3], v[vgprLocalReadAddrA] offset:11264 // L -> Reg lro=640 swapByteOffset=0 ti=16 vIdx=4 rIdx=0 oIdx=0 buffer=0 iui=0
/* localReadsVacancy: latencyLeft 1 */
v_add_f64 v[246:247], -v[vgprValuA_X1_I0+4+0+0+2:vgprValuA_X1_I0+4+0+0+2+1], 0 // Ai=-Ai
v_mfma_f64_16x16x4_f64 v[8+0:15+0], v[vgprG2LB+36+0:vgprG2LB+36+0+1], v[vgprValuA_X1_I0+4+0+0:vgprValuA_X1_I0+4+0+0+1], v[8:15]
 // Cr += Ar*Br
/*  mfmaIndex:25  */
/* localReadsVacancy: latencyLeft 5 */
v_mfma_f64_16x16x4_f64 v[48+0:55+0], v[vgprG2LB+36+0:vgprG2LB+36+0+1], v[vgprValuA_X1_I0+4+0+0+2:vgprValuA_X1_I0+4+0+0+2+1], v[48:55]
 // Ci += Ai*Br
/*  mfmaIndex:26  */
/* localReadsVacancy: latencyLeft 5 */
v_mfma_f64_16x16x4_f64 v[8+0:15+0], v[vgprG2LB+36+0+2:vgprG2LB+36+0+2+1], v[246:247], v[8:15]
 // Cr += -Ai*Bi
/*  mfmaIndex:27  */
/* localReadsVacancy: latencyLeft 5 */
v_mfma_f64_16x16x4_f64 v[48+0:55+0], v[vgprG2LB+36+0+2:vgprG2LB+36+0+2+1], v[vgprValuA_X1_I0+4+0+0:vgprValuA_X1_I0+4+0+0+1], v[48:55]
 // Ci += Ar*Bi
/*  mfmaIndex:28  */
/* localReadsVacancy: latencyLeft 5 */
v_add_f64 v[246:247], -v[vgprValuA_X1_I0+8+0+0+2:vgprValuA_X1_I0+8+0+0+2+1], 0 // Ai=-Ai
v_mfma_f64_16x16x4_f64 v[16+0:23+0], v[vgprG2LB+36+0:vgprG2LB+36+0+1], v[vgprValuA_X1_I0+8+0+0:vgprValuA_X1_I0+8+0+0+1], v[16:23]
 // Cr += Ar*Br
/*  mfmaIndex:29  */
/* localReadsVacancy: latencyLeft 5 */
v_mfma_f64_16x16x4_f64 v[56+0:63+0], v[vgprG2LB+36+0:vgprG2LB+36+0+1], v[vgprValuA_X1_I0+8+0+0+2:vgprValuA_X1_I0+8+0+0+2+1], v[56:63]
 // Ci += Ai*Br
/*  mfmaIndex:30  */
/* localReadsVacancy: latencyLeft 5 */
v_mfma_f64_16x16x4_f64 v[16+0:23+0], v[vgprG2LB+36+0+2:vgprG2LB+36+0+2+1], v[246:247], v[16:23]
 // Cr += -Ai*Bi
/*  mfmaIndex:31  */
/* localReadsVacancy: latencyLeft 5 */
v_mfma_f64_16x16x4_f64 v[56+0:63+0], v[vgprG2LB+36+0+2:vgprG2LB+36+0+2+1], v[vgprValuA_X1_I0+8+0+0:vgprValuA_X1_I0+8+0+0+1], v[56:63]
 // Ci += Ar*Bi
/*  mfmaIndex:32  */
	;; [unrolled: 17-line block ×3, first 2 shown]
/* localReadsVacancy: latencyLeft 5 */
v_add_f64 v[246:247], -v[vgprValuA_X1_I0+16+0+0+2:vgprValuA_X1_I0+16+0+0+2+1], 0 // Ai=-Ai
v_mfma_f64_16x16x4_f64 v[32+0:39+0], v[vgprG2LB+36+0:vgprG2LB+36+0+1], v[vgprValuA_X1_I0+16+0+0:vgprValuA_X1_I0+16+0+0+1], v[32:39]
 // Cr += Ar*Br
/*  mfmaIndex:37  */
/* localReadsVacancy: latencyLeft 5 */
v_mfma_f64_16x16x4_f64 v[72+0:79+0], v[vgprG2LB+36+0:vgprG2LB+36+0+1], v[vgprValuA_X1_I0+16+0+0+2:vgprValuA_X1_I0+16+0+0+2+1], v[72:79]
 // Ci += Ai*Br
/*  mfmaIndex:38  */
/* localReadsVacancy: latencyLeft 5 */
v_mfma_f64_16x16x4_f64 v[32+0:39+0], v[vgprG2LB+36+0+2:vgprG2LB+36+0+2+1], v[246:247], v[32:39]
 // Cr += -Ai*Bi
/*  mfmaIndex:39  */
/* localReadsVacancy: latencyLeft 5 */
v_mfma_f64_16x16x4_f64 v[72+0:79+0], v[vgprG2LB+36+0+2:vgprG2LB+36+0+2+1], v[vgprValuA_X1_I0+16+0+0:vgprValuA_X1_I0+16+0+0+1], v[72:79]
 // Ci += Ar*Bi
/* numPrefetchIter=0 */
/* dataAtIterA=0 numReadsIterA=2 skipReadsIterA=1 readsPerIterA=5 */
/* dataAtIterB=0 numReadsIterB=2 skipReadsIterB=1 readsPerIterB=1 */


/* closeLoop loopL finalLoop=0 tailLoop=1 */
s_sub_i32 s[sgprLoopCounterL], s[sgprLoopCounterL], 0x4 // dec counterL (tailLoop)
s_add_u32 s[sgprOrigLoopCounter], s[sgprOrigLoopCounter], 0x4 // inc counterL
s_cmp_le_i32 s[sgprLoopCounterL], 0x0              // counterL<=0
s_cbranch_scc1 TailLoopEndL_OptNLL_22              // exit LoopL


/* iter 2 (last unrolled loop) */

s_waitcnt vmcnt(5)                                 // lgkmcnt=-1 vmcnt=5global read wait for DirectToVgpr

/*  grEndMfmaIndex:0, lwStartMfmaIndex:139, lwEndMfmaIndex:139  */
/*  numMfmaForLR:10, barrierMfmaIndex:149, LocalWritePerMfma:1.060 */
/*  mfmaIndex:40  */
_ds_load_b128 v[vgprValuA_X1_I0+0:vgprValuA_X1_I0+0+3], v[vgprLocalReadAddrA] offset:15360 // L -> Reg lro=960 swapByteOffset=0 ti=16 vIdx=0 rIdx=0 oIdx=0 buffer=1 iui=0
s_waitcnt lgkmcnt(1)                               // lgkmcnt=0 vmcnt=-1wait for prior local read local write old=0, new=1 newLW=0 newLR=1
v_add_f64 v[246:247], -v[vgprValuA_X0_I0+0+0+0+2:vgprValuA_X0_I0+0+0+0+2+1], 0 // Ai=-Ai
v_mfma_f64_16x16x4_f64 v[0+0:7+0], v[vgprG2LB+40+0:vgprG2LB+40+0+1], v[vgprValuA_X0_I0+0+0+0:vgprValuA_X0_I0+0+0+0+1], v[0:7]
 // Cr += Ar*Br
/*  mfmaIndex:41  */
_ds_load_b128 v[vgprValuA_X1_I0+4:vgprValuA_X1_I0+4+3], v[vgprLocalReadAddrA] offset:15616 // L -> Reg lro=960 swapByteOffset=0 ti=16 vIdx=1 rIdx=0 oIdx=0 buffer=1 iui=0
v_mfma_f64_16x16x4_f64 v[40+0:47+0], v[vgprG2LB+40+0:vgprG2LB+40+0+1], v[vgprValuA_X0_I0+0+0+0+2:vgprValuA_X0_I0+0+0+0+2+1], v[40:47]
 // Ci += Ai*Br
/*  mfmaIndex:42  */
_ds_load_b128 v[vgprValuA_X1_I0+8:vgprValuA_X1_I0+8+3], v[vgprLocalReadAddrA] offset:15872 // L -> Reg lro=960 swapByteOffset=0 ti=16 vIdx=2 rIdx=0 oIdx=0 buffer=1 iui=0
v_mfma_f64_16x16x4_f64 v[0+0:7+0], v[vgprG2LB+40+0+2:vgprG2LB+40+0+2+1], v[246:247], v[0:7]
 // Cr += -Ai*Bi
/*  mfmaIndex:43  */
_ds_load_b128 v[vgprValuA_X1_I0+12:vgprValuA_X1_I0+12+3], v[vgprLocalReadAddrA] offset:16128 // L -> Reg lro=960 swapByteOffset=0 ti=16 vIdx=3 rIdx=0 oIdx=0 buffer=1 iui=0
v_mfma_f64_16x16x4_f64 v[40+0:47+0], v[vgprG2LB+40+0+2:vgprG2LB+40+0+2+1], v[vgprValuA_X0_I0+0+0+0:vgprValuA_X0_I0+0+0+0+1], v[40:47]
 // Ci += Ar*Bi
/*  mfmaIndex:44  */
_ds_load_b128 v[vgprValuA_X1_I0+16:vgprValuA_X1_I0+16+3], v[vgprLocalReadAddrA] offset:16384 // L -> Reg lro=960 swapByteOffset=0 ti=16 vIdx=4 rIdx=0 oIdx=0 buffer=1 iui=0
/* localReadsVacancy: latencyLeft 1 */
v_add_f64 v[246:247], -v[vgprValuA_X0_I0+4+0+0+2:vgprValuA_X0_I0+4+0+0+2+1], 0 // Ai=-Ai
v_mfma_f64_16x16x4_f64 v[8+0:15+0], v[vgprG2LB+40+0:vgprG2LB+40+0+1], v[vgprValuA_X0_I0+4+0+0:vgprValuA_X0_I0+4+0+0+1], v[8:15]
 // Cr += Ar*Br
/*  mfmaIndex:45  */
/* localReadsVacancy: latencyLeft 5 */
v_mfma_f64_16x16x4_f64 v[48+0:55+0], v[vgprG2LB+40+0:vgprG2LB+40+0+1], v[vgprValuA_X0_I0+4+0+0+2:vgprValuA_X0_I0+4+0+0+2+1], v[48:55]
 // Ci += Ai*Br
/*  mfmaIndex:46  */
/* localReadsVacancy: latencyLeft 5 */
v_mfma_f64_16x16x4_f64 v[8+0:15+0], v[vgprG2LB+40+0+2:vgprG2LB+40+0+2+1], v[246:247], v[8:15]
 // Cr += -Ai*Bi
/*  mfmaIndex:47  */
/* localReadsVacancy: latencyLeft 5 */
v_mfma_f64_16x16x4_f64 v[48+0:55+0], v[vgprG2LB+40+0+2:vgprG2LB+40+0+2+1], v[vgprValuA_X0_I0+4+0+0:vgprValuA_X0_I0+4+0+0+1], v[48:55]
 // Ci += Ar*Bi
/*  mfmaIndex:48  */
/* localReadsVacancy: latencyLeft 5 */
v_add_f64 v[246:247], -v[vgprValuA_X0_I0+8+0+0+2:vgprValuA_X0_I0+8+0+0+2+1], 0 // Ai=-Ai
v_mfma_f64_16x16x4_f64 v[16+0:23+0], v[vgprG2LB+40+0:vgprG2LB+40+0+1], v[vgprValuA_X0_I0+8+0+0:vgprValuA_X0_I0+8+0+0+1], v[16:23]
 // Cr += Ar*Br
/*  mfmaIndex:49  */
/* localReadsVacancy: latencyLeft 5 */
v_mfma_f64_16x16x4_f64 v[56+0:63+0], v[vgprG2LB+40+0:vgprG2LB+40+0+1], v[vgprValuA_X0_I0+8+0+0+2:vgprValuA_X0_I0+8+0+0+2+1], v[56:63]
 // Ci += Ai*Br
/*  mfmaIndex:50  */
/* localReadsVacancy: latencyLeft 5 */
v_mfma_f64_16x16x4_f64 v[16+0:23+0], v[vgprG2LB+40+0+2:vgprG2LB+40+0+2+1], v[246:247], v[16:23]
 // Cr += -Ai*Bi
/*  mfmaIndex:51  */
/* localReadsVacancy: latencyLeft 5 */
v_mfma_f64_16x16x4_f64 v[56+0:63+0], v[vgprG2LB+40+0+2:vgprG2LB+40+0+2+1], v[vgprValuA_X0_I0+8+0+0:vgprValuA_X0_I0+8+0+0+1], v[56:63]
 // Ci += Ar*Bi
/*  mfmaIndex:52  */
	;; [unrolled: 17-line block ×3, first 2 shown]
/* localReadsVacancy: latencyLeft 5 */
v_add_f64 v[246:247], -v[vgprValuA_X0_I0+16+0+0+2:vgprValuA_X0_I0+16+0+0+2+1], 0 // Ai=-Ai
v_mfma_f64_16x16x4_f64 v[32+0:39+0], v[vgprG2LB+40+0:vgprG2LB+40+0+1], v[vgprValuA_X0_I0+16+0+0:vgprValuA_X0_I0+16+0+0+1], v[32:39]
 // Cr += Ar*Br
/*  mfmaIndex:57  */
/* localReadsVacancy: latencyLeft 5 */
v_mfma_f64_16x16x4_f64 v[72+0:79+0], v[vgprG2LB+40+0:vgprG2LB+40+0+1], v[vgprValuA_X0_I0+16+0+0+2:vgprValuA_X0_I0+16+0+0+2+1], v[72:79]
 // Ci += Ai*Br
/*  mfmaIndex:58  */
/* localReadsVacancy: latencyLeft 5 */
v_mfma_f64_16x16x4_f64 v[32+0:39+0], v[vgprG2LB+40+0+2:vgprG2LB+40+0+2+1], v[246:247], v[32:39]
 // Cr += -Ai*Bi
/*  mfmaIndex:59  */
/* localReadsVacancy: latencyLeft 5 */
v_mfma_f64_16x16x4_f64 v[72+0:79+0], v[vgprG2LB+40+0+2:vgprG2LB+40+0+2+1], v[vgprValuA_X0_I0+16+0+0:vgprValuA_X0_I0+16+0+0+1], v[72:79]
 // Ci += Ar*Bi
/* numPrefetchIter=0 */
/* dataAtIterA=1 numReadsIterA=3 skipReadsIterA=1 readsPerIterA=5 */
/* dataAtIterB=1 numReadsIterB=3 skipReadsIterB=1 readsPerIterB=1 */


/* closeLoop loopL finalLoop=0 tailLoop=1 */
s_sub_i32 s[sgprLoopCounterL], s[sgprLoopCounterL], 0x4 // dec counterL (tailLoop)
s_add_u32 s[sgprOrigLoopCounter], s[sgprOrigLoopCounter], 0x4 // inc counterL
s_cmp_le_i32 s[sgprLoopCounterL], 0x0              // counterL<=0
s_cbranch_scc1 TailLoopEndL_OptNLL_22              // exit LoopL


/* iter 3 (last unrolled loop) */

s_waitcnt vmcnt(4)                                 // lgkmcnt=-1 vmcnt=4global read wait for DirectToVgpr

/*  grEndMfmaIndex:0, lwStartMfmaIndex:139, lwEndMfmaIndex:139  */
/*  numMfmaForLR:10, barrierMfmaIndex:149, LocalWritePerMfma:1.060 */
/*  mfmaIndex:60  */
_ds_load_b128 v[vgprValuA_X0_I0+0:vgprValuA_X0_I0+0+3], v[vgprLocalReadAddrA] offset:20480 // L -> Reg lro=1280 swapByteOffset=0 ti=16 vIdx=0 rIdx=0 oIdx=0 buffer=0 iui=0
s_waitcnt lgkmcnt(1)                               // lgkmcnt=0 vmcnt=-1wait for prior local read local write old=0, new=1 newLW=0 newLR=1
v_add_f64 v[246:247], -v[vgprValuA_X1_I0+0+0+0+2:vgprValuA_X1_I0+0+0+0+2+1], 0 // Ai=-Ai
v_mfma_f64_16x16x4_f64 v[0+0:7+0], v[vgprG2LB+44+0:vgprG2LB+44+0+1], v[vgprValuA_X1_I0+0+0+0:vgprValuA_X1_I0+0+0+0+1], v[0:7]
 // Cr += Ar*Br
/*  mfmaIndex:61  */
_ds_load_b128 v[vgprValuA_X0_I0+4:vgprValuA_X0_I0+4+3], v[vgprLocalReadAddrA] offset:20736 // L -> Reg lro=1280 swapByteOffset=0 ti=16 vIdx=1 rIdx=0 oIdx=0 buffer=0 iui=0
v_mfma_f64_16x16x4_f64 v[40+0:47+0], v[vgprG2LB+44+0:vgprG2LB+44+0+1], v[vgprValuA_X1_I0+0+0+0+2:vgprValuA_X1_I0+0+0+0+2+1], v[40:47]
 // Ci += Ai*Br
/*  mfmaIndex:62  */
_ds_load_b128 v[vgprValuA_X0_I0+8:vgprValuA_X0_I0+8+3], v[vgprLocalReadAddrA] offset:20992 // L -> Reg lro=1280 swapByteOffset=0 ti=16 vIdx=2 rIdx=0 oIdx=0 buffer=0 iui=0
v_mfma_f64_16x16x4_f64 v[0+0:7+0], v[vgprG2LB+44+0+2:vgprG2LB+44+0+2+1], v[246:247], v[0:7]
 // Cr += -Ai*Bi
/*  mfmaIndex:63  */
_ds_load_b128 v[vgprValuA_X0_I0+12:vgprValuA_X0_I0+12+3], v[vgprLocalReadAddrA] offset:21248 // L -> Reg lro=1280 swapByteOffset=0 ti=16 vIdx=3 rIdx=0 oIdx=0 buffer=0 iui=0
v_mfma_f64_16x16x4_f64 v[40+0:47+0], v[vgprG2LB+44+0+2:vgprG2LB+44+0+2+1], v[vgprValuA_X1_I0+0+0+0:vgprValuA_X1_I0+0+0+0+1], v[40:47]
 // Ci += Ar*Bi
/*  mfmaIndex:64  */
_ds_load_b128 v[vgprValuA_X0_I0+16:vgprValuA_X0_I0+16+3], v[vgprLocalReadAddrA] offset:21504 // L -> Reg lro=1280 swapByteOffset=0 ti=16 vIdx=4 rIdx=0 oIdx=0 buffer=0 iui=0
/* localReadsVacancy: latencyLeft 1 */
v_add_f64 v[246:247], -v[vgprValuA_X1_I0+4+0+0+2:vgprValuA_X1_I0+4+0+0+2+1], 0 // Ai=-Ai
v_mfma_f64_16x16x4_f64 v[8+0:15+0], v[vgprG2LB+44+0:vgprG2LB+44+0+1], v[vgprValuA_X1_I0+4+0+0:vgprValuA_X1_I0+4+0+0+1], v[8:15]
 // Cr += Ar*Br
/*  mfmaIndex:65  */
/* localReadsVacancy: latencyLeft 5 */
v_mfma_f64_16x16x4_f64 v[48+0:55+0], v[vgprG2LB+44+0:vgprG2LB+44+0+1], v[vgprValuA_X1_I0+4+0+0+2:vgprValuA_X1_I0+4+0+0+2+1], v[48:55]
 // Ci += Ai*Br
/*  mfmaIndex:66  */
/* localReadsVacancy: latencyLeft 5 */
v_mfma_f64_16x16x4_f64 v[8+0:15+0], v[vgprG2LB+44+0+2:vgprG2LB+44+0+2+1], v[246:247], v[8:15]
 // Cr += -Ai*Bi
/*  mfmaIndex:67  */
/* localReadsVacancy: latencyLeft 5 */
v_mfma_f64_16x16x4_f64 v[48+0:55+0], v[vgprG2LB+44+0+2:vgprG2LB+44+0+2+1], v[vgprValuA_X1_I0+4+0+0:vgprValuA_X1_I0+4+0+0+1], v[48:55]
 // Ci += Ar*Bi
/*  mfmaIndex:68  */
/* localReadsVacancy: latencyLeft 5 */
v_add_f64 v[246:247], -v[vgprValuA_X1_I0+8+0+0+2:vgprValuA_X1_I0+8+0+0+2+1], 0 // Ai=-Ai
v_mfma_f64_16x16x4_f64 v[16+0:23+0], v[vgprG2LB+44+0:vgprG2LB+44+0+1], v[vgprValuA_X1_I0+8+0+0:vgprValuA_X1_I0+8+0+0+1], v[16:23]
 // Cr += Ar*Br
/*  mfmaIndex:69  */
/* localReadsVacancy: latencyLeft 5 */
v_mfma_f64_16x16x4_f64 v[56+0:63+0], v[vgprG2LB+44+0:vgprG2LB+44+0+1], v[vgprValuA_X1_I0+8+0+0+2:vgprValuA_X1_I0+8+0+0+2+1], v[56:63]
 // Ci += Ai*Br
/*  mfmaIndex:70  */
/* localReadsVacancy: latencyLeft 5 */
v_mfma_f64_16x16x4_f64 v[16+0:23+0], v[vgprG2LB+44+0+2:vgprG2LB+44+0+2+1], v[246:247], v[16:23]
 // Cr += -Ai*Bi
/*  mfmaIndex:71  */
/* localReadsVacancy: latencyLeft 5 */
v_mfma_f64_16x16x4_f64 v[56+0:63+0], v[vgprG2LB+44+0+2:vgprG2LB+44+0+2+1], v[vgprValuA_X1_I0+8+0+0:vgprValuA_X1_I0+8+0+0+1], v[56:63]
 // Ci += Ar*Bi
/*  mfmaIndex:72  */
	;; [unrolled: 17-line block ×3, first 2 shown]
/* localReadsVacancy: latencyLeft 5 */
v_add_f64 v[246:247], -v[vgprValuA_X1_I0+16+0+0+2:vgprValuA_X1_I0+16+0+0+2+1], 0 // Ai=-Ai
v_mfma_f64_16x16x4_f64 v[32+0:39+0], v[vgprG2LB+44+0:vgprG2LB+44+0+1], v[vgprValuA_X1_I0+16+0+0:vgprValuA_X1_I0+16+0+0+1], v[32:39]
 // Cr += Ar*Br
/*  mfmaIndex:77  */
/* localReadsVacancy: latencyLeft 5 */
v_mfma_f64_16x16x4_f64 v[72+0:79+0], v[vgprG2LB+44+0:vgprG2LB+44+0+1], v[vgprValuA_X1_I0+16+0+0+2:vgprValuA_X1_I0+16+0+0+2+1], v[72:79]
 // Ci += Ai*Br
/*  mfmaIndex:78  */
/* localReadsVacancy: latencyLeft 5 */
v_mfma_f64_16x16x4_f64 v[32+0:39+0], v[vgprG2LB+44+0+2:vgprG2LB+44+0+2+1], v[246:247], v[32:39]
 // Cr += -Ai*Bi
/*  mfmaIndex:79  */
/* localReadsVacancy: latencyLeft 5 */
v_mfma_f64_16x16x4_f64 v[72+0:79+0], v[vgprG2LB+44+0+2:vgprG2LB+44+0+2+1], v[vgprValuA_X1_I0+16+0+0:vgprValuA_X1_I0+16+0+0+1], v[72:79]
 // Ci += Ar*Bi
/* numPrefetchIter=0 */
/* dataAtIterA=2 numReadsIterA=4 skipReadsIterA=1 readsPerIterA=5 */
/* dataAtIterB=2 numReadsIterB=4 skipReadsIterB=1 readsPerIterB=1 */


/* closeLoop loopL finalLoop=0 tailLoop=1 */
s_sub_i32 s[sgprLoopCounterL], s[sgprLoopCounterL], 0x4 // dec counterL (tailLoop)
s_add_u32 s[sgprOrigLoopCounter], s[sgprOrigLoopCounter], 0x4 // inc counterL
s_cmp_le_i32 s[sgprLoopCounterL], 0x0              // counterL<=0
s_cbranch_scc1 TailLoopEndL_OptNLL_22              // exit LoopL


/* iter 4 (last unrolled loop) */

s_waitcnt vmcnt(3)                                 // lgkmcnt=-1 vmcnt=3global read wait for DirectToVgpr

/*  grEndMfmaIndex:0, lwStartMfmaIndex:139, lwEndMfmaIndex:139  */
/*  numMfmaForLR:10, barrierMfmaIndex:149, LocalWritePerMfma:1.060 */
/*  mfmaIndex:80  */
_ds_load_b128 v[vgprValuA_X1_I0+0:vgprValuA_X1_I0+0+3], v[vgprLocalReadAddrA] offset:25600 // L -> Reg lro=1600 swapByteOffset=0 ti=16 vIdx=0 rIdx=0 oIdx=0 buffer=1 iui=0
s_waitcnt lgkmcnt(1)                               // lgkmcnt=0 vmcnt=-1wait for prior local read local write old=0, new=1 newLW=0 newLR=1
v_add_f64 v[246:247], -v[vgprValuA_X0_I0+0+0+0+2:vgprValuA_X0_I0+0+0+0+2+1], 0 // Ai=-Ai
v_mfma_f64_16x16x4_f64 v[0+0:7+0], v[vgprG2LB+48+0:vgprG2LB+48+0+1], v[vgprValuA_X0_I0+0+0+0:vgprValuA_X0_I0+0+0+0+1], v[0:7]
 // Cr += Ar*Br
/*  mfmaIndex:81  */
_ds_load_b128 v[vgprValuA_X1_I0+4:vgprValuA_X1_I0+4+3], v[vgprLocalReadAddrA] offset:25856 // L -> Reg lro=1600 swapByteOffset=0 ti=16 vIdx=1 rIdx=0 oIdx=0 buffer=1 iui=0
v_mfma_f64_16x16x4_f64 v[40+0:47+0], v[vgprG2LB+48+0:vgprG2LB+48+0+1], v[vgprValuA_X0_I0+0+0+0+2:vgprValuA_X0_I0+0+0+0+2+1], v[40:47]
 // Ci += Ai*Br
/*  mfmaIndex:82  */
_ds_load_b128 v[vgprValuA_X1_I0+8:vgprValuA_X1_I0+8+3], v[vgprLocalReadAddrA] offset:26112 // L -> Reg lro=1600 swapByteOffset=0 ti=16 vIdx=2 rIdx=0 oIdx=0 buffer=1 iui=0
v_mfma_f64_16x16x4_f64 v[0+0:7+0], v[vgprG2LB+48+0+2:vgprG2LB+48+0+2+1], v[246:247], v[0:7]
 // Cr += -Ai*Bi
/*  mfmaIndex:83  */
_ds_load_b128 v[vgprValuA_X1_I0+12:vgprValuA_X1_I0+12+3], v[vgprLocalReadAddrA] offset:26368 // L -> Reg lro=1600 swapByteOffset=0 ti=16 vIdx=3 rIdx=0 oIdx=0 buffer=1 iui=0
v_mfma_f64_16x16x4_f64 v[40+0:47+0], v[vgprG2LB+48+0+2:vgprG2LB+48+0+2+1], v[vgprValuA_X0_I0+0+0+0:vgprValuA_X0_I0+0+0+0+1], v[40:47]
 // Ci += Ar*Bi
/*  mfmaIndex:84  */
_ds_load_b128 v[vgprValuA_X1_I0+16:vgprValuA_X1_I0+16+3], v[vgprLocalReadAddrA] offset:26624 // L -> Reg lro=1600 swapByteOffset=0 ti=16 vIdx=4 rIdx=0 oIdx=0 buffer=1 iui=0
/* localReadsVacancy: latencyLeft 1 */
v_add_f64 v[246:247], -v[vgprValuA_X0_I0+4+0+0+2:vgprValuA_X0_I0+4+0+0+2+1], 0 // Ai=-Ai
v_mfma_f64_16x16x4_f64 v[8+0:15+0], v[vgprG2LB+48+0:vgprG2LB+48+0+1], v[vgprValuA_X0_I0+4+0+0:vgprValuA_X0_I0+4+0+0+1], v[8:15]
 // Cr += Ar*Br
/*  mfmaIndex:85  */
/* localReadsVacancy: latencyLeft 5 */
v_mfma_f64_16x16x4_f64 v[48+0:55+0], v[vgprG2LB+48+0:vgprG2LB+48+0+1], v[vgprValuA_X0_I0+4+0+0+2:vgprValuA_X0_I0+4+0+0+2+1], v[48:55]
 // Ci += Ai*Br
/*  mfmaIndex:86  */
/* localReadsVacancy: latencyLeft 5 */
v_mfma_f64_16x16x4_f64 v[8+0:15+0], v[vgprG2LB+48+0+2:vgprG2LB+48+0+2+1], v[246:247], v[8:15]
 // Cr += -Ai*Bi
/*  mfmaIndex:87  */
/* localReadsVacancy: latencyLeft 5 */
v_mfma_f64_16x16x4_f64 v[48+0:55+0], v[vgprG2LB+48+0+2:vgprG2LB+48+0+2+1], v[vgprValuA_X0_I0+4+0+0:vgprValuA_X0_I0+4+0+0+1], v[48:55]
 // Ci += Ar*Bi
/*  mfmaIndex:88  */
/* localReadsVacancy: latencyLeft 5 */
v_add_f64 v[246:247], -v[vgprValuA_X0_I0+8+0+0+2:vgprValuA_X0_I0+8+0+0+2+1], 0 // Ai=-Ai
v_mfma_f64_16x16x4_f64 v[16+0:23+0], v[vgprG2LB+48+0:vgprG2LB+48+0+1], v[vgprValuA_X0_I0+8+0+0:vgprValuA_X0_I0+8+0+0+1], v[16:23]
 // Cr += Ar*Br
/*  mfmaIndex:89  */
/* localReadsVacancy: latencyLeft 5 */
v_mfma_f64_16x16x4_f64 v[56+0:63+0], v[vgprG2LB+48+0:vgprG2LB+48+0+1], v[vgprValuA_X0_I0+8+0+0+2:vgprValuA_X0_I0+8+0+0+2+1], v[56:63]
 // Ci += Ai*Br
/*  mfmaIndex:90  */
/* localReadsVacancy: latencyLeft 5 */
v_mfma_f64_16x16x4_f64 v[16+0:23+0], v[vgprG2LB+48+0+2:vgprG2LB+48+0+2+1], v[246:247], v[16:23]
 // Cr += -Ai*Bi
/*  mfmaIndex:91  */
/* localReadsVacancy: latencyLeft 5 */
v_mfma_f64_16x16x4_f64 v[56+0:63+0], v[vgprG2LB+48+0+2:vgprG2LB+48+0+2+1], v[vgprValuA_X0_I0+8+0+0:vgprValuA_X0_I0+8+0+0+1], v[56:63]
 // Ci += Ar*Bi
/*  mfmaIndex:92  */
/* localReadsVacancy: latencyLeft 5 */
v_add_f64 v[246:247], -v[vgprValuA_X0_I0+12+0+0+2:vgprValuA_X0_I0+12+0+0+2+1], 0 // Ai=-Ai
v_mfma_f64_16x16x4_f64 v[24+0:31+0], v[vgprG2LB+48+0:vgprG2LB+48+0+1], v[vgprValuA_X0_I0+12+0+0:vgprValuA_X0_I0+12+0+0+1], v[24:31]
 // Cr += Ar*Br
/*  mfmaIndex:93  */
/* localReadsVacancy: latencyLeft 5 */
v_mfma_f64_16x16x4_f64 v[64+0:71+0], v[vgprG2LB+48+0:vgprG2LB+48+0+1], v[vgprValuA_X0_I0+12+0+0+2:vgprValuA_X0_I0+12+0+0+2+1], v[64:71]
 // Ci += Ai*Br
/*  mfmaIndex:94  */
/* localReadsVacancy: latencyLeft 5 */
v_mfma_f64_16x16x4_f64 v[24+0:31+0], v[vgprG2LB+48+0+2:vgprG2LB+48+0+2+1], v[246:247], v[24:31]
 // Cr += -Ai*Bi
/*  mfmaIndex:95  */
/* localReadsVacancy: latencyLeft 5 */
v_mfma_f64_16x16x4_f64 v[64+0:71+0], v[vgprG2LB+48+0+2:vgprG2LB+48+0+2+1], v[vgprValuA_X0_I0+12+0+0:vgprValuA_X0_I0+12+0+0+1], v[64:71]
 // Ci += Ar*Bi
/*  mfmaIndex:96  */
/* localReadsVacancy: latencyLeft 5 */
v_add_f64 v[246:247], -v[vgprValuA_X0_I0+16+0+0+2:vgprValuA_X0_I0+16+0+0+2+1], 0 // Ai=-Ai
v_mfma_f64_16x16x4_f64 v[32+0:39+0], v[vgprG2LB+48+0:vgprG2LB+48+0+1], v[vgprValuA_X0_I0+16+0+0:vgprValuA_X0_I0+16+0+0+1], v[32:39]
 // Cr += Ar*Br
/*  mfmaIndex:97  */
/* localReadsVacancy: latencyLeft 5 */
v_mfma_f64_16x16x4_f64 v[72+0:79+0], v[vgprG2LB+48+0:vgprG2LB+48+0+1], v[vgprValuA_X0_I0+16+0+0+2:vgprValuA_X0_I0+16+0+0+2+1], v[72:79]
 // Ci += Ai*Br
/*  mfmaIndex:98  */
/* localReadsVacancy: latencyLeft 5 */
v_mfma_f64_16x16x4_f64 v[32+0:39+0], v[vgprG2LB+48+0+2:vgprG2LB+48+0+2+1], v[246:247], v[32:39]
 // Cr += -Ai*Bi
/*  mfmaIndex:99  */
/* localReadsVacancy: latencyLeft 5 */
v_mfma_f64_16x16x4_f64 v[72+0:79+0], v[vgprG2LB+48+0+2:vgprG2LB+48+0+2+1], v[vgprValuA_X0_I0+16+0+0:vgprValuA_X0_I0+16+0+0+1], v[72:79]
 // Ci += Ar*Bi
/* numPrefetchIter=0 */
/* dataAtIterA=3 numReadsIterA=5 skipReadsIterA=1 readsPerIterA=5 */
/* dataAtIterB=3 numReadsIterB=5 skipReadsIterB=1 readsPerIterB=1 */


/* closeLoop loopL finalLoop=0 tailLoop=1 */
s_sub_i32 s[sgprLoopCounterL], s[sgprLoopCounterL], 0x4 // dec counterL (tailLoop)
s_add_u32 s[sgprOrigLoopCounter], s[sgprOrigLoopCounter], 0x4 // inc counterL
s_cmp_le_i32 s[sgprLoopCounterL], 0x0              // counterL<=0
s_cbranch_scc1 TailLoopEndL_OptNLL_22              // exit LoopL


/* iter 5 (last unrolled loop) */

s_waitcnt vmcnt(2)                                 // lgkmcnt=-1 vmcnt=2global read wait for DirectToVgpr

/*  grEndMfmaIndex:0, lwStartMfmaIndex:139, lwEndMfmaIndex:139  */
/*  numMfmaForLR:10, barrierMfmaIndex:149, LocalWritePerMfma:1.060 */
/*  mfmaIndex:100  */
_ds_load_b128 v[vgprValuA_X0_I0+0:vgprValuA_X0_I0+0+3], v[vgprLocalReadAddrA] offset:30720 // L -> Reg lro=1920 swapByteOffset=0 ti=16 vIdx=0 rIdx=0 oIdx=0 buffer=0 iui=0
s_waitcnt lgkmcnt(1)                               // lgkmcnt=0 vmcnt=-1wait for prior local read local write old=0, new=1 newLW=0 newLR=1
v_add_f64 v[246:247], -v[vgprValuA_X1_I0+0+0+0+2:vgprValuA_X1_I0+0+0+0+2+1], 0 // Ai=-Ai
v_mfma_f64_16x16x4_f64 v[0+0:7+0], v[vgprG2LB+52+0:vgprG2LB+52+0+1], v[vgprValuA_X1_I0+0+0+0:vgprValuA_X1_I0+0+0+0+1], v[0:7]
 // Cr += Ar*Br
/*  mfmaIndex:101  */
_ds_load_b128 v[vgprValuA_X0_I0+4:vgprValuA_X0_I0+4+3], v[vgprLocalReadAddrA] offset:30976 // L -> Reg lro=1920 swapByteOffset=0 ti=16 vIdx=1 rIdx=0 oIdx=0 buffer=0 iui=0
v_mfma_f64_16x16x4_f64 v[40+0:47+0], v[vgprG2LB+52+0:vgprG2LB+52+0+1], v[vgprValuA_X1_I0+0+0+0+2:vgprValuA_X1_I0+0+0+0+2+1], v[40:47]
 // Ci += Ai*Br
/*  mfmaIndex:102  */
_ds_load_b128 v[vgprValuA_X0_I0+8:vgprValuA_X0_I0+8+3], v[vgprLocalReadAddrA] offset:31232 // L -> Reg lro=1920 swapByteOffset=0 ti=16 vIdx=2 rIdx=0 oIdx=0 buffer=0 iui=0
v_mfma_f64_16x16x4_f64 v[0+0:7+0], v[vgprG2LB+52+0+2:vgprG2LB+52+0+2+1], v[246:247], v[0:7]
 // Cr += -Ai*Bi
/*  mfmaIndex:103  */
_ds_load_b128 v[vgprValuA_X0_I0+12:vgprValuA_X0_I0+12+3], v[vgprLocalReadAddrA] offset:31488 // L -> Reg lro=1920 swapByteOffset=0 ti=16 vIdx=3 rIdx=0 oIdx=0 buffer=0 iui=0
v_mfma_f64_16x16x4_f64 v[40+0:47+0], v[vgprG2LB+52+0+2:vgprG2LB+52+0+2+1], v[vgprValuA_X1_I0+0+0+0:vgprValuA_X1_I0+0+0+0+1], v[40:47]
 // Ci += Ar*Bi
/*  mfmaIndex:104  */
_ds_load_b128 v[vgprValuA_X0_I0+16:vgprValuA_X0_I0+16+3], v[vgprLocalReadAddrA] offset:31744 // L -> Reg lro=1920 swapByteOffset=0 ti=16 vIdx=4 rIdx=0 oIdx=0 buffer=0 iui=0
/* localReadsVacancy: latencyLeft 1 */
v_add_f64 v[246:247], -v[vgprValuA_X1_I0+4+0+0+2:vgprValuA_X1_I0+4+0+0+2+1], 0 // Ai=-Ai
v_mfma_f64_16x16x4_f64 v[8+0:15+0], v[vgprG2LB+52+0:vgprG2LB+52+0+1], v[vgprValuA_X1_I0+4+0+0:vgprValuA_X1_I0+4+0+0+1], v[8:15]
 // Cr += Ar*Br
/*  mfmaIndex:105  */
/* localReadsVacancy: latencyLeft 5 */
v_mfma_f64_16x16x4_f64 v[48+0:55+0], v[vgprG2LB+52+0:vgprG2LB+52+0+1], v[vgprValuA_X1_I0+4+0+0+2:vgprValuA_X1_I0+4+0+0+2+1], v[48:55]
 // Ci += Ai*Br
/*  mfmaIndex:106  */
/* localReadsVacancy: latencyLeft 5 */
v_mfma_f64_16x16x4_f64 v[8+0:15+0], v[vgprG2LB+52+0+2:vgprG2LB+52+0+2+1], v[246:247], v[8:15]
 // Cr += -Ai*Bi
/*  mfmaIndex:107  */
/* localReadsVacancy: latencyLeft 5 */
v_mfma_f64_16x16x4_f64 v[48+0:55+0], v[vgprG2LB+52+0+2:vgprG2LB+52+0+2+1], v[vgprValuA_X1_I0+4+0+0:vgprValuA_X1_I0+4+0+0+1], v[48:55]
 // Ci += Ar*Bi
/*  mfmaIndex:108  */
/* localReadsVacancy: latencyLeft 5 */
v_add_f64 v[246:247], -v[vgprValuA_X1_I0+8+0+0+2:vgprValuA_X1_I0+8+0+0+2+1], 0 // Ai=-Ai
v_mfma_f64_16x16x4_f64 v[16+0:23+0], v[vgprG2LB+52+0:vgprG2LB+52+0+1], v[vgprValuA_X1_I0+8+0+0:vgprValuA_X1_I0+8+0+0+1], v[16:23]
 // Cr += Ar*Br
/*  mfmaIndex:109  */
/* localReadsVacancy: latencyLeft 5 */
v_mfma_f64_16x16x4_f64 v[56+0:63+0], v[vgprG2LB+52+0:vgprG2LB+52+0+1], v[vgprValuA_X1_I0+8+0+0+2:vgprValuA_X1_I0+8+0+0+2+1], v[56:63]
 // Ci += Ai*Br
/*  mfmaIndex:110  */
/* localReadsVacancy: latencyLeft 5 */
v_mfma_f64_16x16x4_f64 v[16+0:23+0], v[vgprG2LB+52+0+2:vgprG2LB+52+0+2+1], v[246:247], v[16:23]
 // Cr += -Ai*Bi
/*  mfmaIndex:111  */
/* localReadsVacancy: latencyLeft 5 */
v_mfma_f64_16x16x4_f64 v[56+0:63+0], v[vgprG2LB+52+0+2:vgprG2LB+52+0+2+1], v[vgprValuA_X1_I0+8+0+0:vgprValuA_X1_I0+8+0+0+1], v[56:63]
 // Ci += Ar*Bi
/*  mfmaIndex:112  */
	;; [unrolled: 17-line block ×3, first 2 shown]
/* localReadsVacancy: latencyLeft 5 */
v_add_f64 v[246:247], -v[vgprValuA_X1_I0+16+0+0+2:vgprValuA_X1_I0+16+0+0+2+1], 0 // Ai=-Ai
v_mfma_f64_16x16x4_f64 v[32+0:39+0], v[vgprG2LB+52+0:vgprG2LB+52+0+1], v[vgprValuA_X1_I0+16+0+0:vgprValuA_X1_I0+16+0+0+1], v[32:39]
 // Cr += Ar*Br
/*  mfmaIndex:117  */
/* localReadsVacancy: latencyLeft 5 */
v_mfma_f64_16x16x4_f64 v[72+0:79+0], v[vgprG2LB+52+0:vgprG2LB+52+0+1], v[vgprValuA_X1_I0+16+0+0+2:vgprValuA_X1_I0+16+0+0+2+1], v[72:79]
 // Ci += Ai*Br
/*  mfmaIndex:118  */
/* localReadsVacancy: latencyLeft 5 */
v_mfma_f64_16x16x4_f64 v[32+0:39+0], v[vgprG2LB+52+0+2:vgprG2LB+52+0+2+1], v[246:247], v[32:39]
 // Cr += -Ai*Bi
/*  mfmaIndex:119  */
/* localReadsVacancy: latencyLeft 5 */
v_mfma_f64_16x16x4_f64 v[72+0:79+0], v[vgprG2LB+52+0+2:vgprG2LB+52+0+2+1], v[vgprValuA_X1_I0+16+0+0:vgprValuA_X1_I0+16+0+0+1], v[72:79]
 // Ci += Ar*Bi
/* numPrefetchIter=0 */
/* dataAtIterA=4 numReadsIterA=6 skipReadsIterA=1 readsPerIterA=5 */
/* dataAtIterB=4 numReadsIterB=6 skipReadsIterB=1 readsPerIterB=1 */


/* closeLoop loopL finalLoop=0 tailLoop=1 */
s_sub_i32 s[sgprLoopCounterL], s[sgprLoopCounterL], 0x4 // dec counterL (tailLoop)
s_add_u32 s[sgprOrigLoopCounter], s[sgprOrigLoopCounter], 0x4 // inc counterL
s_cmp_le_i32 s[sgprLoopCounterL], 0x0              // counterL<=0
s_cbranch_scc1 TailLoopEndL_OptNLL_22              // exit LoopL


/* iter 6 (last unrolled loop) */

s_waitcnt vmcnt(1)                                 // lgkmcnt=-1 vmcnt=1global read wait for DirectToVgpr

/*  grEndMfmaIndex:0, lwStartMfmaIndex:139, lwEndMfmaIndex:139  */
/*  numMfmaForLR:10, barrierMfmaIndex:149, LocalWritePerMfma:1.060 */
/*  mfmaIndex:120  */
_ds_load_b128 v[vgprValuA_X1_I0+0:vgprValuA_X1_I0+0+3], v[vgprLocalReadAddrA] offset:35840 // L -> Reg lro=2240 swapByteOffset=0 ti=16 vIdx=0 rIdx=0 oIdx=0 buffer=1 iui=0
s_waitcnt lgkmcnt(1)                               // lgkmcnt=0 vmcnt=-1wait for prior local read local write old=0, new=1 newLW=0 newLR=1
v_add_f64 v[246:247], -v[vgprValuA_X0_I0+0+0+0+2:vgprValuA_X0_I0+0+0+0+2+1], 0 // Ai=-Ai
v_mfma_f64_16x16x4_f64 v[0+0:7+0], v[vgprG2LB+56+0:vgprG2LB+56+0+1], v[vgprValuA_X0_I0+0+0+0:vgprValuA_X0_I0+0+0+0+1], v[0:7]
 // Cr += Ar*Br
/*  mfmaIndex:121  */
_ds_load_b128 v[vgprValuA_X1_I0+4:vgprValuA_X1_I0+4+3], v[vgprLocalReadAddrA] offset:36096 // L -> Reg lro=2240 swapByteOffset=0 ti=16 vIdx=1 rIdx=0 oIdx=0 buffer=1 iui=0
v_mfma_f64_16x16x4_f64 v[40+0:47+0], v[vgprG2LB+56+0:vgprG2LB+56+0+1], v[vgprValuA_X0_I0+0+0+0+2:vgprValuA_X0_I0+0+0+0+2+1], v[40:47]
 // Ci += Ai*Br
/*  mfmaIndex:122  */
_ds_load_b128 v[vgprValuA_X1_I0+8:vgprValuA_X1_I0+8+3], v[vgprLocalReadAddrA] offset:36352 // L -> Reg lro=2240 swapByteOffset=0 ti=16 vIdx=2 rIdx=0 oIdx=0 buffer=1 iui=0
v_mfma_f64_16x16x4_f64 v[0+0:7+0], v[vgprG2LB+56+0+2:vgprG2LB+56+0+2+1], v[246:247], v[0:7]
 // Cr += -Ai*Bi
/*  mfmaIndex:123  */
_ds_load_b128 v[vgprValuA_X1_I0+12:vgprValuA_X1_I0+12+3], v[vgprLocalReadAddrA] offset:36608 // L -> Reg lro=2240 swapByteOffset=0 ti=16 vIdx=3 rIdx=0 oIdx=0 buffer=1 iui=0
v_mfma_f64_16x16x4_f64 v[40+0:47+0], v[vgprG2LB+56+0+2:vgprG2LB+56+0+2+1], v[vgprValuA_X0_I0+0+0+0:vgprValuA_X0_I0+0+0+0+1], v[40:47]
 // Ci += Ar*Bi
/*  mfmaIndex:124  */
_ds_load_b128 v[vgprValuA_X1_I0+16:vgprValuA_X1_I0+16+3], v[vgprLocalReadAddrA] offset:36864 // L -> Reg lro=2240 swapByteOffset=0 ti=16 vIdx=4 rIdx=0 oIdx=0 buffer=1 iui=0
/* localReadsVacancy: latencyLeft 1 */
v_add_f64 v[246:247], -v[vgprValuA_X0_I0+4+0+0+2:vgprValuA_X0_I0+4+0+0+2+1], 0 // Ai=-Ai
v_mfma_f64_16x16x4_f64 v[8+0:15+0], v[vgprG2LB+56+0:vgprG2LB+56+0+1], v[vgprValuA_X0_I0+4+0+0:vgprValuA_X0_I0+4+0+0+1], v[8:15]
 // Cr += Ar*Br
/*  mfmaIndex:125  */
/* localReadsVacancy: latencyLeft 5 */
v_mfma_f64_16x16x4_f64 v[48+0:55+0], v[vgprG2LB+56+0:vgprG2LB+56+0+1], v[vgprValuA_X0_I0+4+0+0+2:vgprValuA_X0_I0+4+0+0+2+1], v[48:55]
 // Ci += Ai*Br
/*  mfmaIndex:126  */
/* localReadsVacancy: latencyLeft 5 */
v_mfma_f64_16x16x4_f64 v[8+0:15+0], v[vgprG2LB+56+0+2:vgprG2LB+56+0+2+1], v[246:247], v[8:15]
 // Cr += -Ai*Bi
/*  mfmaIndex:127  */
/* localReadsVacancy: latencyLeft 5 */
v_mfma_f64_16x16x4_f64 v[48+0:55+0], v[vgprG2LB+56+0+2:vgprG2LB+56+0+2+1], v[vgprValuA_X0_I0+4+0+0:vgprValuA_X0_I0+4+0+0+1], v[48:55]
 // Ci += Ar*Bi
/*  mfmaIndex:128  */
/* localReadsVacancy: latencyLeft 5 */
v_add_f64 v[246:247], -v[vgprValuA_X0_I0+8+0+0+2:vgprValuA_X0_I0+8+0+0+2+1], 0 // Ai=-Ai
v_mfma_f64_16x16x4_f64 v[16+0:23+0], v[vgprG2LB+56+0:vgprG2LB+56+0+1], v[vgprValuA_X0_I0+8+0+0:vgprValuA_X0_I0+8+0+0+1], v[16:23]
 // Cr += Ar*Br
/*  mfmaIndex:129  */
/* localReadsVacancy: latencyLeft 5 */
v_mfma_f64_16x16x4_f64 v[56+0:63+0], v[vgprG2LB+56+0:vgprG2LB+56+0+1], v[vgprValuA_X0_I0+8+0+0+2:vgprValuA_X0_I0+8+0+0+2+1], v[56:63]
 // Ci += Ai*Br
/*  mfmaIndex:130  */
/* localReadsVacancy: latencyLeft 5 */
v_mfma_f64_16x16x4_f64 v[16+0:23+0], v[vgprG2LB+56+0+2:vgprG2LB+56+0+2+1], v[246:247], v[16:23]
 // Cr += -Ai*Bi
/*  mfmaIndex:131  */
/* localReadsVacancy: latencyLeft 5 */
v_mfma_f64_16x16x4_f64 v[56+0:63+0], v[vgprG2LB+56+0+2:vgprG2LB+56+0+2+1], v[vgprValuA_X0_I0+8+0+0:vgprValuA_X0_I0+8+0+0+1], v[56:63]
 // Ci += Ar*Bi
/*  mfmaIndex:132  */
	;; [unrolled: 17-line block ×3, first 2 shown]
/* localReadsVacancy: latencyLeft 5 */
v_add_f64 v[246:247], -v[vgprValuA_X0_I0+16+0+0+2:vgprValuA_X0_I0+16+0+0+2+1], 0 // Ai=-Ai
v_mfma_f64_16x16x4_f64 v[32+0:39+0], v[vgprG2LB+56+0:vgprG2LB+56+0+1], v[vgprValuA_X0_I0+16+0+0:vgprValuA_X0_I0+16+0+0+1], v[32:39]
 // Cr += Ar*Br
/*  mfmaIndex:137  */
/* localReadsVacancy: latencyLeft 5 */
v_mfma_f64_16x16x4_f64 v[72+0:79+0], v[vgprG2LB+56+0:vgprG2LB+56+0+1], v[vgprValuA_X0_I0+16+0+0+2:vgprValuA_X0_I0+16+0+0+2+1], v[72:79]
 // Ci += Ai*Br
/*  mfmaIndex:138  */
/* localReadsVacancy: latencyLeft 5 */
/* 1 LDS buffer: read-sync-write */
s_waitcnt lgkmcnt(0)                               // 
s_barrier                                          // 
v_mfma_f64_16x16x4_f64 v[32+0:39+0], v[vgprG2LB+56+0+2:vgprG2LB+56+0+2+1], v[246:247], v[32:39]
 // Cr += -Ai*Bi
/*  mfmaIndex:139  */
/* localReadsVacancy: latencyLeft 5 */
v_mfma_f64_16x16x4_f64 v[72+0:79+0], v[vgprG2LB+56+0+2:vgprG2LB+56+0+2+1], v[vgprValuA_X0_I0+16+0+0:vgprValuA_X0_I0+16+0+0+1], v[72:79]
 // Ci += Ar*Bi
/* numPrefetchIter=0 */
/* dataAtIterA=5 numReadsIterA=7 skipReadsIterA=1 readsPerIterA=5 */
/* dataAtIterB=5 numReadsIterB=7 skipReadsIterB=1 readsPerIterB=1 */


/* closeLoop loopL finalLoop=0 tailLoop=1 */
s_sub_i32 s[sgprLoopCounterL], s[sgprLoopCounterL], 0x4 // dec counterL (tailLoop)
s_add_u32 s[sgprOrigLoopCounter], s[sgprOrigLoopCounter], 0x4 // inc counterL
s_cmp_le_i32 s[sgprLoopCounterL], 0x0              // counterL<=0
s_cbranch_scc1 TailLoopEndL_OptNLL_22              // exit LoopL


/* iter 7 (last unrolled loop) */

s_waitcnt vmcnt(0)                                 // lgkmcnt=-1 vmcnt=0global read wait for DirectToVgpr

/*  grEndMfmaIndex:0, lwStartMfmaIndex:139, lwEndMfmaIndex:139  */
/*  numMfmaForLR:10, barrierMfmaIndex:149, LocalWritePerMfma:1.060 */
/*  mfmaIndex:140  */
s_waitcnt lgkmcnt(0)                               // lgkmcnt=0 vmcnt=-1wait for prior local read local write old=0, new=0 newLW=0 newLR=0
v_add_f64 v[246:247], -v[vgprValuA_X1_I0+0+0+0+2:vgprValuA_X1_I0+0+0+0+2+1], 0 // Ai=-Ai
v_mfma_f64_16x16x4_f64 v[0+0:7+0], v[vgprG2LB+60+0:vgprG2LB+60+0+1], v[vgprValuA_X1_I0+0+0+0:vgprValuA_X1_I0+0+0+0+1], v[0:7]
 // Cr += Ar*Br
/*  mfmaIndex:141  */
v_mfma_f64_16x16x4_f64 v[40+0:47+0], v[vgprG2LB+60+0:vgprG2LB+60+0+1], v[vgprValuA_X1_I0+0+0+0+2:vgprValuA_X1_I0+0+0+0+2+1], v[40:47]
 // Ci += Ai*Br
/*  mfmaIndex:142  */
v_mfma_f64_16x16x4_f64 v[0+0:7+0], v[vgprG2LB+60+0+2:vgprG2LB+60+0+2+1], v[246:247], v[0:7]
 // Cr += -Ai*Bi
/*  mfmaIndex:143  */
v_mfma_f64_16x16x4_f64 v[40+0:47+0], v[vgprG2LB+60+0+2:vgprG2LB+60+0+2+1], v[vgprValuA_X1_I0+0+0+0:vgprValuA_X1_I0+0+0+0+1], v[40:47]
 // Ci += Ar*Bi
/*  mfmaIndex:144  */
v_add_f64 v[246:247], -v[vgprValuA_X1_I0+4+0+0+2:vgprValuA_X1_I0+4+0+0+2+1], 0 // Ai=-Ai
v_mfma_f64_16x16x4_f64 v[8+0:15+0], v[vgprG2LB+60+0:vgprG2LB+60+0+1], v[vgprValuA_X1_I0+4+0+0:vgprValuA_X1_I0+4+0+0+1], v[8:15]
 // Cr += Ar*Br
/*  mfmaIndex:145  */
v_mfma_f64_16x16x4_f64 v[48+0:55+0], v[vgprG2LB+60+0:vgprG2LB+60+0+1], v[vgprValuA_X1_I0+4+0+0+2:vgprValuA_X1_I0+4+0+0+2+1], v[48:55]
 // Ci += Ai*Br
/*  mfmaIndex:146  */
v_mfma_f64_16x16x4_f64 v[8+0:15+0], v[vgprG2LB+60+0+2:vgprG2LB+60+0+2+1], v[246:247], v[8:15]
 // Cr += -Ai*Bi
/*  mfmaIndex:147  */
v_mfma_f64_16x16x4_f64 v[48+0:55+0], v[vgprG2LB+60+0+2:vgprG2LB+60+0+2+1], v[vgprValuA_X1_I0+4+0+0:vgprValuA_X1_I0+4+0+0+1], v[48:55]
 // Ci += Ar*Bi
/*  mfmaIndex:148  */
	;; [unrolled: 13-line block ×4, first 2 shown]
v_add_f64 v[246:247], -v[vgprValuA_X1_I0+16+0+0+2:vgprValuA_X1_I0+16+0+0+2+1], 0 // Ai=-Ai
v_mfma_f64_16x16x4_f64 v[32+0:39+0], v[vgprG2LB+60+0:vgprG2LB+60+0+1], v[vgprValuA_X1_I0+16+0+0:vgprValuA_X1_I0+16+0+0+1], v[32:39]
 // Cr += Ar*Br
/*  mfmaIndex:157  */
v_mfma_f64_16x16x4_f64 v[72+0:79+0], v[vgprG2LB+60+0:vgprG2LB+60+0+1], v[vgprValuA_X1_I0+16+0+0+2:vgprValuA_X1_I0+16+0+0+2+1], v[72:79]
 // Ci += Ai*Br
/*  mfmaIndex:158  */
v_mfma_f64_16x16x4_f64 v[32+0:39+0], v[vgprG2LB+60+0+2:vgprG2LB+60+0+2+1], v[246:247], v[32:39]
 // Cr += -Ai*Bi
/*  mfmaIndex:159  */
v_mfma_f64_16x16x4_f64 v[72+0:79+0], v[vgprG2LB+60+0+2:vgprG2LB+60+0+2+1], v[vgprValuA_X1_I0+16+0+0:vgprValuA_X1_I0+16+0+0+1], v[72:79]
 // Ci += Ar*Bi
/* numPrefetchIter=0 */
/* dataAtIterA=6 numReadsIterA=7 skipReadsIterA=0 readsPerIterA=5 */
/* dataAtIterB=6 numReadsIterB=7 skipReadsIterB=0 readsPerIterB=1 */

TailLoopEndL_OptNLL_22:

label_0025: // EvenEndNoLoadLoopOpt 

s_waitcnt lgkmcnt(0)                               // lgkmcnt=0 vmcnt=-113wait for remaining local read for tail loop in NLL

s_waitcnt vmcnt(0)                                 // lgkmcnt=-1 vmcnt=014wait for remaining DirectToVgpr global read for tail loop in NLL

/* Stores for OptNLL */
Summation_End_OptNLL_26:
/* endSummation: add vgpr [80...244) to pool */

/* Mapping of Acc register -> C Vgpr register */

/* Multiply MI out register with Alpha -> C Vgpr register */
/* computeStoreVgprs */
v_lshrrev_b32 v84, 6, v[vgprSerial]                // v84 = v[vgprSerial] / 64
v_and_b32 v81, 63, v[vgprSerial]                   // v81 = v[vgprSerial] % 64
v_lshrrev_b32 v81, 4, v81                          // v81 = v81 / 16
                                                   // thread0 * continuous_output (multiplier is 1, do nothing)
v_lshrrev_b32 v85, 0, v84                          // v85 = v84 / 1
v_mul_lo_u32 v85, 0x10, v85                        // wave coordination offset 1
_v_add_lshl_u32 v81, v85, v81, 0                   // coordination 1 = vwb *(wave_id1 + tid1)
v_mul_lo_u32 v82, v81, s[sgprStrideC1J]            //  offset 1
v_mul_lo_u32 v83, v81, s[sgprStrideD1J]            //  offset 1
v_and_b32 v85, 0, v84                              // v85 = v84 % 1
v_and_b32 v80, 15, v[vgprSerial]                   // v80 = v[vgprSerial] % 16
_v_add_lshl_u32 v80, v85, v80, 0                   // coordination 0 = vwa *(wave_id0 + tid0)
s_mul_i32 s31, 80, s[sgprWorkGroup0]               // wgp0 * MT0
_v_add_u32 v80, s31, v80                           // coord 0 = (tid0/MI_m)*4 + waveG0*MIB_m + MT0*SG0
s_mul_i32 s31, 64, s[sgprWorkGroup1]               // wgp1 * MT1
_v_add_u32 v81, s31, v81                           // coord 1 = (tid0%MI_m) + waveG1*MIB_n + MT1*SG1
GW_B0_E0_29:

/* edge=0, allocate 2 sgpr. perBatchTmpS=2 perBatchMaskS=0 perElementMaskS=0 elementsPerBatch=2 */
/* optSingleColVgpr=1 optSharedColVgpr=0 optSGPRUsage=BufferLoad_Mask optSrdIncForRow=1 */

/******************************************/
/* Global Write Batch #0 (d1,d0,vc1,vc0) = */
/*    (0,0,0,0:vw1); (0,1,0,0:vw1)        */
/******************************************/

/* calc coords, apply mask, and issue loads (if necessary) */
/* (d1,vc1,d0,vc0)=(0,0,0,0) */
/* (d1,vc1,d0,vc0)=(0,0,1,0) */
_v_add_lshl_u32 v86, v83, v80, 0x4                 // optSingleColVgpr scaleToBpe: sharedAddrVgpr <- cinRowPtr + coord0, scaled by BPE. BSHERE:coord0=80, coord0Vgpr=80
v_mov_b32 v[vgprValuC+88], v[vgprValuC+0] // copy MI out reg to vreg[0]
v_mov_b32 v[vgprValuC+89], v[vgprValuC+1] // copy MI out reg to vreg[1]
	;; [unrolled: 1-line block ×8, first 2 shown]

/* apply mask, calc new C and issue writes */
_buffer_store_b128 v[88:91], v86, s[sgprSrdD:sgprSrdD+3], 0, offen, offset:0 // store D
_buffer_store_b128 v[92:95], v86, s[sgprSrdD:sgprSrdD+3], 0, offen, offset:256 // store D
s_nop 0                                            // 1 wait state required when next inst writes vgprs held by previous dwordx4 store inst
/* optSingleColVgpr=1 optSharedColVgpr=0 optSGPRUsage=BufferLoad_Mask optSrdIncForRow=1 */

/******************************************/
/* Global Write Batch #1 (d1,d0,vc1,vc0) = */
/*    (0,2,0,0:vw1); (0,3,0,0:vw1)        */
/******************************************/

/* calc coords, apply mask, and issue loads (if necessary) */
/* (d1,vc1,d0,vc0)=(0,0,2,0) */
/* (d1,vc1,d0,vc0)=(0,0,3,0) */
v_mov_b32 v[vgprValuC+88], v[vgprValuC+16] // copy MI out reg to vreg[8]
v_mov_b32 v[vgprValuC+89], v[vgprValuC+17] // copy MI out reg to vreg[9]
	;; [unrolled: 1-line block ×8, first 2 shown]

/* apply mask, calc new C and issue writes */
_buffer_store_b128 v[88:91], v86, s[sgprSrdD:sgprSrdD+3], 0, offen, offset:512 // store D
_buffer_store_b128 v[92:95], v86, s[sgprSrdD:sgprSrdD+3], 0, offen, offset:768 // store D
s_nop 0                                            // 1 wait state required when next inst writes vgprs held by previous dwordx4 store inst
/* optSingleColVgpr=1 optSharedColVgpr=0 optSGPRUsage=BufferLoad_Mask optSrdIncForRow=1 */

/******************************************/
/* Global Write Batch #2 (d1,d0,vc1,vc0) = */
/*    (0,4,0,0:vw1); (1,0,0,0:vw1)        */
/******************************************/

/* calc coords, apply mask, and issue loads (if necessary) */
/* (d1,vc1,d0,vc0)=(0,0,4,0) */
/* (d1,vc1,d0,vc0)=(1,0,0,0) */
v_mov_b32 v[vgprValuC+88], v[vgprValuC+32] // copy MI out reg to vreg[16]
v_mov_b32 v[vgprValuC+89], v[vgprValuC+33] // copy MI out reg to vreg[17]
	;; [unrolled: 1-line block ×8, first 2 shown]

/* apply mask, calc new C and issue writes */
_buffer_store_b128 v[88:91], v86, s[sgprSrdD:sgprSrdD+3], 0, offen, offset:1024 // store D
s_mul_i32 s32, s[sgprStrideD1J], 64                // scale StrideD *= numRows(4) * bpe
s_add_u32  s[sgprSrdD+0], s[sgprSrdD+0], s32       // incToNextRow: gra SRD += inc(lower)
s_addc_u32  s[sgprSrdD+1], s[sgprSrdD+1], 0        // incToNextRow: gra SRD += inc(upper)
_buffer_store_b128 v[92:95], v86, s[sgprSrdD:sgprSrdD+3], 0, offen, offset:0 // store D
s_nop 0                                            // 1 wait state required when next inst writes vgprs held by previous dwordx4 store inst
/* optSingleColVgpr=1 optSharedColVgpr=0 optSGPRUsage=BufferLoad_Mask optSrdIncForRow=1 */

/******************************************/
/* Global Write Batch #3 (d1,d0,vc1,vc0) = */
/*    (1,1,0,0:vw1); (1,2,0,0:vw1)        */
/******************************************/

/* calc coords, apply mask, and issue loads (if necessary) */
/* (d1,vc1,d0,vc0)=(1,0,1,0) */
/* (d1,vc1,d0,vc0)=(1,0,2,0) */
v_mov_b32 v[vgprValuC+88], v[vgprValuC+10] // copy MI out reg to vreg[24]
v_mov_b32 v[vgprValuC+89], v[vgprValuC+11] // copy MI out reg to vreg[25]
	;; [unrolled: 1-line block ×8, first 2 shown]

/* apply mask, calc new C and issue writes */
_buffer_store_b128 v[88:91], v86, s[sgprSrdD:sgprSrdD+3], 0, offen, offset:256 // store D
_buffer_store_b128 v[92:95], v86, s[sgprSrdD:sgprSrdD+3], 0, offen, offset:512 // store D
s_nop 0                                            // 1 wait state required when next inst writes vgprs held by previous dwordx4 store inst
/* optSingleColVgpr=1 optSharedColVgpr=0 optSGPRUsage=BufferLoad_Mask optSrdIncForRow=1 */

/******************************************/
/* Global Write Batch #4 (d1,d0,vc1,vc0) = */
/*    (1,3,0,0:vw1); (1,4,0,0:vw1)        */
/******************************************/

/* calc coords, apply mask, and issue loads (if necessary) */
/* (d1,vc1,d0,vc0)=(1,0,3,0) */
/* (d1,vc1,d0,vc0)=(1,0,4,0) */
v_mov_b32 v[vgprValuC+88], v[vgprValuC+26] // copy MI out reg to vreg[32]
v_mov_b32 v[vgprValuC+89], v[vgprValuC+27] // copy MI out reg to vreg[33]
	;; [unrolled: 1-line block ×8, first 2 shown]

/* apply mask, calc new C and issue writes */
_buffer_store_b128 v[88:91], v86, s[sgprSrdD:sgprSrdD+3], 0, offen, offset:768 // store D
_buffer_store_b128 v[92:95], v86, s[sgprSrdD:sgprSrdD+3], 0, offen, offset:1024 // store D
s_nop 0                                            // 1 wait state required when next inst writes vgprs held by previous dwordx4 store inst
/* optSingleColVgpr=1 optSharedColVgpr=0 optSGPRUsage=BufferLoad_Mask optSrdIncForRow=1 */

/******************************************/
/* Global Write Batch #5 (d1,d0,vc1,vc0) = */
/*    (2,0,0,0:vw1); (2,1,0,0:vw1)        */
/******************************************/

/* calc coords, apply mask, and issue loads (if necessary) */
/* (d1,vc1,d0,vc0)=(2,0,0,0) */
/* (d1,vc1,d0,vc0)=(2,0,1,0) */
v_mov_b32 v[vgprValuC+88], v[vgprValuC+4] // copy MI out reg to vreg[40]
v_mov_b32 v[vgprValuC+89], v[vgprValuC+5] // copy MI out reg to vreg[41]
	;; [unrolled: 1-line block ×8, first 2 shown]

/* apply mask, calc new C and issue writes */
s_mul_i32 s32, s[sgprStrideD1J], 64                // scale StrideD *= numRows(4) * bpe
s_add_u32  s[sgprSrdD+0], s[sgprSrdD+0], s32       // incToNextRow: gra SRD += inc(lower)
s_addc_u32  s[sgprSrdD+1], s[sgprSrdD+1], 0        // incToNextRow: gra SRD += inc(upper)
_buffer_store_b128 v[88:91], v86, s[sgprSrdD:sgprSrdD+3], 0, offen, offset:0 // store D
_buffer_store_b128 v[92:95], v86, s[sgprSrdD:sgprSrdD+3], 0, offen, offset:256 // store D
s_nop 0                                            // 1 wait state required when next inst writes vgprs held by previous dwordx4 store inst
/* optSingleColVgpr=1 optSharedColVgpr=0 optSGPRUsage=BufferLoad_Mask optSrdIncForRow=1 */

/******************************************/
/* Global Write Batch #6 (d1,d0,vc1,vc0) = */
/*    (2,2,0,0:vw1); (2,3,0,0:vw1)        */
/******************************************/

/* calc coords, apply mask, and issue loads (if necessary) */
/* (d1,vc1,d0,vc0)=(2,0,2,0) */
/* (d1,vc1,d0,vc0)=(2,0,3,0) */
v_mov_b32 v[vgprValuC+88], v[vgprValuC+20] // copy MI out reg to vreg[48]
v_mov_b32 v[vgprValuC+89], v[vgprValuC+21] // copy MI out reg to vreg[49]
	;; [unrolled: 1-line block ×8, first 2 shown]

/* apply mask, calc new C and issue writes */
_buffer_store_b128 v[88:91], v86, s[sgprSrdD:sgprSrdD+3], 0, offen, offset:512 // store D
_buffer_store_b128 v[92:95], v86, s[sgprSrdD:sgprSrdD+3], 0, offen, offset:768 // store D
s_nop 0                                            // 1 wait state required when next inst writes vgprs held by previous dwordx4 store inst
/* optSingleColVgpr=1 optSharedColVgpr=0 optSGPRUsage=BufferLoad_Mask optSrdIncForRow=1 */

/******************************************/
/* Global Write Batch #7 (d1,d0,vc1,vc0) = */
/*    (2,4,0,0:vw1); (3,0,0,0:vw1)        */
/******************************************/

/* calc coords, apply mask, and issue loads (if necessary) */
/* (d1,vc1,d0,vc0)=(2,0,4,0) */
/* (d1,vc1,d0,vc0)=(3,0,0,0) */
v_mov_b32 v[vgprValuC+88], v[vgprValuC+36] // copy MI out reg to vreg[56]
v_mov_b32 v[vgprValuC+89], v[vgprValuC+37] // copy MI out reg to vreg[57]
	;; [unrolled: 1-line block ×8, first 2 shown]

/* apply mask, calc new C and issue writes */
_buffer_store_b128 v[88:91], v86, s[sgprSrdD:sgprSrdD+3], 0, offen, offset:1024 // store D
s_mul_i32 s32, s[sgprStrideD1J], 64                // scale StrideD *= numRows(4) * bpe
s_add_u32  s[sgprSrdD+0], s[sgprSrdD+0], s32       // incToNextRow: gra SRD += inc(lower)
s_addc_u32  s[sgprSrdD+1], s[sgprSrdD+1], 0        // incToNextRow: gra SRD += inc(upper)
_buffer_store_b128 v[92:95], v86, s[sgprSrdD:sgprSrdD+3], 0, offen, offset:0 // store D
s_nop 0                                            // 1 wait state required when next inst writes vgprs held by previous dwordx4 store inst
/* optSingleColVgpr=1 optSharedColVgpr=0 optSGPRUsage=BufferLoad_Mask optSrdIncForRow=1 */

/******************************************/
/* Global Write Batch #8 (d1,d0,vc1,vc0) = */
/*    (3,1,0,0:vw1); (3,2,0,0:vw1)        */
/******************************************/

/* calc coords, apply mask, and issue loads (if necessary) */
/* (d1,vc1,d0,vc0)=(3,0,1,0) */
/* (d1,vc1,d0,vc0)=(3,0,2,0) */
v_mov_b32 v[vgprValuC+88], v[vgprValuC+14] // copy MI out reg to vreg[64]
v_mov_b32 v[vgprValuC+89], v[vgprValuC+15] // copy MI out reg to vreg[65]
	;; [unrolled: 1-line block ×8, first 2 shown]

/* apply mask, calc new C and issue writes */
_buffer_store_b128 v[88:91], v86, s[sgprSrdD:sgprSrdD+3], 0, offen, offset:256 // store D
_buffer_store_b128 v[92:95], v86, s[sgprSrdD:sgprSrdD+3], 0, offen, offset:512 // store D
s_nop 0                                            // 1 wait state required when next inst writes vgprs held by previous dwordx4 store inst
/* optSingleColVgpr=1 optSharedColVgpr=0 optSGPRUsage=BufferLoad_Mask optSrdIncForRow=1 */

/******************************************/
/* Global Write Batch #9 (d1,d0,vc1,vc0) = */
/*    (3,3,0,0:vw1); (3,4,0,0:vw1)        */
/******************************************/

/* calc coords, apply mask, and issue loads (if necessary) */
/* (d1,vc1,d0,vc0)=(3,0,3,0) */
/* (d1,vc1,d0,vc0)=(3,0,4,0) */
v_mov_b32 v[vgprValuC+88], v[vgprValuC+30] // copy MI out reg to vreg[72]
v_mov_b32 v[vgprValuC+89], v[vgprValuC+31] // copy MI out reg to vreg[73]
	;; [unrolled: 1-line block ×8, first 2 shown]

/* apply mask, calc new C and issue writes */
_buffer_store_b128 v[88:91], v86, s[sgprSrdD:sgprSrdD+3], 0, offen, offset:768 // store D
_buffer_store_b128 v[92:95], v86, s[sgprSrdD:sgprSrdD+3], 0, offen, offset:1024 // store D
s_nop 0                                            // 1 wait state required when next inst writes vgprs held by previous dwordx4 store inst
s_branch label_GW_End_31                           // jump to end
label_GW_End_31:

s_endpgm                                           // Kernel End
OptNLL_End_19:


/******************************************/
/* Ord. NoLoadLoop - Begin                                      */
/******************************************/


	;; [unrolled: 1-line block ×3, first 2 shown]
/* Tail Loop in NoLoadLoop */
//numIterL = (((sizeL % LOCAL_DEPTHU) + LOCAL_SPLITU - 1) / LOCAL_SPLITU)
s_and_b32 s[sgprLoopCounterL], 31, s[sgprSizesSum+0] // s[sgprLoopCounterL] = s[sgprSizesSum+0] % 32
s_cmp_eq_u32 s[sgprLoopCounterL], 0x0              // numIterL == 0
s_cmov_b32 s[sgprLoopCounterL], 0x20               // Convert 0 to DepthU in tail loop NLL case

s_and_b32 s31, s[sgprOrigLoopCounter], 1           // test if OrigLoopCounter is Odd ?
s_cbranch_scc0 label_0036                          // Skip odd code if OrigLoopCounter is Even


	;; [unrolled: 1-line block ×3, first 2 shown]
/* iter 0 (last unrolled loop) */

s_waitcnt vmcnt(7)                                 // lgkmcnt=-1 vmcnt=7global read wait for DirectToVgpr

/*  grEndMfmaIndex:0, lwStartMfmaIndex:139, lwEndMfmaIndex:139  */
/*  numMfmaForLR:10, barrierMfmaIndex:149, LocalWritePerMfma:1.060 */
/*  mfmaIndex:0  */
s_waitcnt lgkmcnt(0)                               // lgkmcnt=0 vmcnt=-1wait for prior local read local write old=0, new=0 newLW=0 newLR=0
v_add_f64 v[246:247], -v[vgprValuA_X0_I0+0+0+0+2:vgprValuA_X0_I0+0+0+0+2+1], 0 // Ai=-Ai
v_mfma_f64_16x16x4_f64 v[0+0:7+0], v[vgprG2LB+0+0:vgprG2LB+0+0+1], v[vgprValuA_X0_I0+0+0+0:vgprValuA_X0_I0+0+0+0+1], v[0:7]
 // Cr += Ar*Br
/*  mfmaIndex:1  */
_ds_load_b128 v[vgprValuA_X1_I0+0:vgprValuA_X1_I0+0+3], v[vgprLocalReadAddrA] offset:5120 // L -> Reg lro=320 swapByteOffset=0 ti=16 vIdx=0 rIdx=0 oIdx=0 buffer=1 iui=0
v_mfma_f64_16x16x4_f64 v[40+0:47+0], v[vgprG2LB+0+0:vgprG2LB+0+0+1], v[vgprValuA_X0_I0+0+0+0+2:vgprValuA_X0_I0+0+0+0+2+1], v[40:47]
 // Ci += Ai*Br
/*  mfmaIndex:2  */
_ds_load_b128 v[vgprValuA_X1_I0+4:vgprValuA_X1_I0+4+3], v[vgprLocalReadAddrA] offset:5376 // L -> Reg lro=320 swapByteOffset=0 ti=16 vIdx=1 rIdx=0 oIdx=0 buffer=1 iui=0
v_mfma_f64_16x16x4_f64 v[0+0:7+0], v[vgprG2LB+0+0+2:vgprG2LB+0+0+2+1], v[246:247], v[0:7]
 // Cr += -Ai*Bi
/*  mfmaIndex:3  */
_ds_load_b128 v[vgprValuA_X1_I0+8:vgprValuA_X1_I0+8+3], v[vgprLocalReadAddrA] offset:5632 // L -> Reg lro=320 swapByteOffset=0 ti=16 vIdx=2 rIdx=0 oIdx=0 buffer=1 iui=0
v_mfma_f64_16x16x4_f64 v[40+0:47+0], v[vgprG2LB+0+0+2:vgprG2LB+0+0+2+1], v[vgprValuA_X0_I0+0+0+0:vgprValuA_X0_I0+0+0+0+1], v[40:47]
 // Ci += Ar*Bi
/*  mfmaIndex:4  */
_ds_load_b128 v[vgprValuA_X1_I0+12:vgprValuA_X1_I0+12+3], v[vgprLocalReadAddrA] offset:5888 // L -> Reg lro=320 swapByteOffset=0 ti=16 vIdx=3 rIdx=0 oIdx=0 buffer=1 iui=0
v_add_f64 v[246:247], -v[vgprValuA_X0_I0+4+0+0+2:vgprValuA_X0_I0+4+0+0+2+1], 0 // Ai=-Ai
v_mfma_f64_16x16x4_f64 v[8+0:15+0], v[vgprG2LB+0+0:vgprG2LB+0+0+1], v[vgprValuA_X0_I0+4+0+0:vgprValuA_X0_I0+4+0+0+1], v[8:15]
 // Cr += Ar*Br
/*  mfmaIndex:5  */
_ds_load_b128 v[vgprValuA_X1_I0+16:vgprValuA_X1_I0+16+3], v[vgprLocalReadAddrA] offset:6144 // L -> Reg lro=320 swapByteOffset=0 ti=16 vIdx=4 rIdx=0 oIdx=0 buffer=1 iui=0
/* localReadsVacancy: latencyLeft 1 */
v_mfma_f64_16x16x4_f64 v[48+0:55+0], v[vgprG2LB+0+0:vgprG2LB+0+0+1], v[vgprValuA_X0_I0+4+0+0+2:vgprValuA_X0_I0+4+0+0+2+1], v[48:55]
 // Ci += Ai*Br
/*  mfmaIndex:6  */
/* localReadsVacancy: latencyLeft 5 */
v_mfma_f64_16x16x4_f64 v[8+0:15+0], v[vgprG2LB+0+0+2:vgprG2LB+0+0+2+1], v[246:247], v[8:15]
 // Cr += -Ai*Bi
/*  mfmaIndex:7  */
/* localReadsVacancy: latencyLeft 5 */
v_mfma_f64_16x16x4_f64 v[48+0:55+0], v[vgprG2LB+0+0+2:vgprG2LB+0+0+2+1], v[vgprValuA_X0_I0+4+0+0:vgprValuA_X0_I0+4+0+0+1], v[48:55]
 // Ci += Ar*Bi
/*  mfmaIndex:8  */
/* localReadsVacancy: latencyLeft 5 */
v_add_f64 v[246:247], -v[vgprValuA_X0_I0+8+0+0+2:vgprValuA_X0_I0+8+0+0+2+1], 0 // Ai=-Ai
v_mfma_f64_16x16x4_f64 v[16+0:23+0], v[vgprG2LB+0+0:vgprG2LB+0+0+1], v[vgprValuA_X0_I0+8+0+0:vgprValuA_X0_I0+8+0+0+1], v[16:23]
 // Cr += Ar*Br
/*  mfmaIndex:9  */
/* localReadsVacancy: latencyLeft 5 */
v_mfma_f64_16x16x4_f64 v[56+0:63+0], v[vgprG2LB+0+0:vgprG2LB+0+0+1], v[vgprValuA_X0_I0+8+0+0+2:vgprValuA_X0_I0+8+0+0+2+1], v[56:63]
 // Ci += Ai*Br
/*  mfmaIndex:10  */
/* localReadsVacancy: latencyLeft 5 */
v_mfma_f64_16x16x4_f64 v[16+0:23+0], v[vgprG2LB+0+0+2:vgprG2LB+0+0+2+1], v[246:247], v[16:23]
 // Cr += -Ai*Bi
/*  mfmaIndex:11  */
/* localReadsVacancy: latencyLeft 5 */
v_mfma_f64_16x16x4_f64 v[56+0:63+0], v[vgprG2LB+0+0+2:vgprG2LB+0+0+2+1], v[vgprValuA_X0_I0+8+0+0:vgprValuA_X0_I0+8+0+0+1], v[56:63]
 // Ci += Ar*Bi
/*  mfmaIndex:12  */
/* localReadsVacancy: latencyLeft 5 */
v_add_f64 v[246:247], -v[vgprValuA_X0_I0+12+0+0+2:vgprValuA_X0_I0+12+0+0+2+1], 0 // Ai=-Ai
v_mfma_f64_16x16x4_f64 v[24+0:31+0], v[vgprG2LB+0+0:vgprG2LB+0+0+1], v[vgprValuA_X0_I0+12+0+0:vgprValuA_X0_I0+12+0+0+1], v[24:31]
 // Cr += Ar*Br
/*  mfmaIndex:13  */
	;; [unrolled: 17-line block ×3, first 2 shown]
/* localReadsVacancy: latencyLeft 5 */
v_mfma_f64_16x16x4_f64 v[72+0:79+0], v[vgprG2LB+0+0:vgprG2LB+0+0+1], v[vgprValuA_X0_I0+16+0+0+2:vgprValuA_X0_I0+16+0+0+2+1], v[72:79]
 // Ci += Ai*Br
/*  mfmaIndex:18  */
/* localReadsVacancy: latencyLeft 5 */
v_mfma_f64_16x16x4_f64 v[32+0:39+0], v[vgprG2LB+0+0+2:vgprG2LB+0+0+2+1], v[246:247], v[32:39]
 // Cr += -Ai*Bi
/*  mfmaIndex:19  */
/* localReadsVacancy: latencyLeft 5 */
v_mfma_f64_16x16x4_f64 v[72+0:79+0], v[vgprG2LB+0+0+2:vgprG2LB+0+0+2+1], v[vgprValuA_X0_I0+16+0+0:vgprValuA_X0_I0+16+0+0+1], v[72:79]
 // Ci += Ar*Bi
/* numPrefetchIter=0 */
/* dataAtIterA=-1 numReadsIterA=1 skipReadsIterA=1 readsPerIterA=5 */
/* dataAtIterB=-1 numReadsIterB=1 skipReadsIterB=1 readsPerIterB=1 */


/* closeLoop loopL finalLoop=0 tailLoop=1 */
s_sub_i32 s[sgprLoopCounterL], s[sgprLoopCounterL], 0x4 // dec counterL (tailLoop)
s_add_u32 s[sgprOrigLoopCounter], s[sgprOrigLoopCounter], 0x4 // inc counterL
s_cmp_le_i32 s[sgprLoopCounterL], 0x0              // counterL<=0
s_cbranch_scc1 TailLoopEndL_oddexit_37             // exit LoopL


/* iter 1 (last unrolled loop) */

s_waitcnt vmcnt(6)                                 // lgkmcnt=-1 vmcnt=6global read wait for DirectToVgpr

/*  grEndMfmaIndex:0, lwStartMfmaIndex:139, lwEndMfmaIndex:139  */
/*  numMfmaForLR:10, barrierMfmaIndex:149, LocalWritePerMfma:1.060 */
/*  mfmaIndex:20  */
_ds_load_b128 v[vgprValuA_X0_I0+0:vgprValuA_X0_I0+0+3], v[vgprLocalReadAddrA] offset:10240 // L -> Reg lro=640 swapByteOffset=0 ti=16 vIdx=0 rIdx=0 oIdx=0 buffer=0 iui=0
s_waitcnt lgkmcnt(1)                               // lgkmcnt=0 vmcnt=-1wait for prior local read local write old=0, new=1 newLW=0 newLR=1
v_add_f64 v[246:247], -v[vgprValuA_X1_I0+0+0+0+2:vgprValuA_X1_I0+0+0+0+2+1], 0 // Ai=-Ai
v_mfma_f64_16x16x4_f64 v[0+0:7+0], v[vgprG2LB+4+0:vgprG2LB+4+0+1], v[vgprValuA_X1_I0+0+0+0:vgprValuA_X1_I0+0+0+0+1], v[0:7]
 // Cr += Ar*Br
/*  mfmaIndex:21  */
_ds_load_b128 v[vgprValuA_X0_I0+4:vgprValuA_X0_I0+4+3], v[vgprLocalReadAddrA] offset:10496 // L -> Reg lro=640 swapByteOffset=0 ti=16 vIdx=1 rIdx=0 oIdx=0 buffer=0 iui=0
v_mfma_f64_16x16x4_f64 v[40+0:47+0], v[vgprG2LB+4+0:vgprG2LB+4+0+1], v[vgprValuA_X1_I0+0+0+0+2:vgprValuA_X1_I0+0+0+0+2+1], v[40:47]
 // Ci += Ai*Br
/*  mfmaIndex:22  */
_ds_load_b128 v[vgprValuA_X0_I0+8:vgprValuA_X0_I0+8+3], v[vgprLocalReadAddrA] offset:10752 // L -> Reg lro=640 swapByteOffset=0 ti=16 vIdx=2 rIdx=0 oIdx=0 buffer=0 iui=0
v_mfma_f64_16x16x4_f64 v[0+0:7+0], v[vgprG2LB+4+0+2:vgprG2LB+4+0+2+1], v[246:247], v[0:7]
 // Cr += -Ai*Bi
/*  mfmaIndex:23  */
_ds_load_b128 v[vgprValuA_X0_I0+12:vgprValuA_X0_I0+12+3], v[vgprLocalReadAddrA] offset:11008 // L -> Reg lro=640 swapByteOffset=0 ti=16 vIdx=3 rIdx=0 oIdx=0 buffer=0 iui=0
v_mfma_f64_16x16x4_f64 v[40+0:47+0], v[vgprG2LB+4+0+2:vgprG2LB+4+0+2+1], v[vgprValuA_X1_I0+0+0+0:vgprValuA_X1_I0+0+0+0+1], v[40:47]
 // Ci += Ar*Bi
/*  mfmaIndex:24  */
_ds_load_b128 v[vgprValuA_X0_I0+16:vgprValuA_X0_I0+16+3], v[vgprLocalReadAddrA] offset:11264 // L -> Reg lro=640 swapByteOffset=0 ti=16 vIdx=4 rIdx=0 oIdx=0 buffer=0 iui=0
/* localReadsVacancy: latencyLeft 1 */
v_add_f64 v[246:247], -v[vgprValuA_X1_I0+4+0+0+2:vgprValuA_X1_I0+4+0+0+2+1], 0 // Ai=-Ai
v_mfma_f64_16x16x4_f64 v[8+0:15+0], v[vgprG2LB+4+0:vgprG2LB+4+0+1], v[vgprValuA_X1_I0+4+0+0:vgprValuA_X1_I0+4+0+0+1], v[8:15]
 // Cr += Ar*Br
/*  mfmaIndex:25  */
/* localReadsVacancy: latencyLeft 5 */
v_mfma_f64_16x16x4_f64 v[48+0:55+0], v[vgprG2LB+4+0:vgprG2LB+4+0+1], v[vgprValuA_X1_I0+4+0+0+2:vgprValuA_X1_I0+4+0+0+2+1], v[48:55]
 // Ci += Ai*Br
/*  mfmaIndex:26  */
/* localReadsVacancy: latencyLeft 5 */
v_mfma_f64_16x16x4_f64 v[8+0:15+0], v[vgprG2LB+4+0+2:vgprG2LB+4+0+2+1], v[246:247], v[8:15]
 // Cr += -Ai*Bi
/*  mfmaIndex:27  */
/* localReadsVacancy: latencyLeft 5 */
v_mfma_f64_16x16x4_f64 v[48+0:55+0], v[vgprG2LB+4+0+2:vgprG2LB+4+0+2+1], v[vgprValuA_X1_I0+4+0+0:vgprValuA_X1_I0+4+0+0+1], v[48:55]
 // Ci += Ar*Bi
/*  mfmaIndex:28  */
/* localReadsVacancy: latencyLeft 5 */
v_add_f64 v[246:247], -v[vgprValuA_X1_I0+8+0+0+2:vgprValuA_X1_I0+8+0+0+2+1], 0 // Ai=-Ai
v_mfma_f64_16x16x4_f64 v[16+0:23+0], v[vgprG2LB+4+0:vgprG2LB+4+0+1], v[vgprValuA_X1_I0+8+0+0:vgprValuA_X1_I0+8+0+0+1], v[16:23]
 // Cr += Ar*Br
/*  mfmaIndex:29  */
/* localReadsVacancy: latencyLeft 5 */
v_mfma_f64_16x16x4_f64 v[56+0:63+0], v[vgprG2LB+4+0:vgprG2LB+4+0+1], v[vgprValuA_X1_I0+8+0+0+2:vgprValuA_X1_I0+8+0+0+2+1], v[56:63]
 // Ci += Ai*Br
/*  mfmaIndex:30  */
/* localReadsVacancy: latencyLeft 5 */
v_mfma_f64_16x16x4_f64 v[16+0:23+0], v[vgprG2LB+4+0+2:vgprG2LB+4+0+2+1], v[246:247], v[16:23]
 // Cr += -Ai*Bi
/*  mfmaIndex:31  */
/* localReadsVacancy: latencyLeft 5 */
v_mfma_f64_16x16x4_f64 v[56+0:63+0], v[vgprG2LB+4+0+2:vgprG2LB+4+0+2+1], v[vgprValuA_X1_I0+8+0+0:vgprValuA_X1_I0+8+0+0+1], v[56:63]
 // Ci += Ar*Bi
/*  mfmaIndex:32  */
	;; [unrolled: 17-line block ×3, first 2 shown]
/* localReadsVacancy: latencyLeft 5 */
v_add_f64 v[246:247], -v[vgprValuA_X1_I0+16+0+0+2:vgprValuA_X1_I0+16+0+0+2+1], 0 // Ai=-Ai
v_mfma_f64_16x16x4_f64 v[32+0:39+0], v[vgprG2LB+4+0:vgprG2LB+4+0+1], v[vgprValuA_X1_I0+16+0+0:vgprValuA_X1_I0+16+0+0+1], v[32:39]
 // Cr += Ar*Br
/*  mfmaIndex:37  */
/* localReadsVacancy: latencyLeft 5 */
v_mfma_f64_16x16x4_f64 v[72+0:79+0], v[vgprG2LB+4+0:vgprG2LB+4+0+1], v[vgprValuA_X1_I0+16+0+0+2:vgprValuA_X1_I0+16+0+0+2+1], v[72:79]
 // Ci += Ai*Br
/*  mfmaIndex:38  */
/* localReadsVacancy: latencyLeft 5 */
v_mfma_f64_16x16x4_f64 v[32+0:39+0], v[vgprG2LB+4+0+2:vgprG2LB+4+0+2+1], v[246:247], v[32:39]
 // Cr += -Ai*Bi
/*  mfmaIndex:39  */
/* localReadsVacancy: latencyLeft 5 */
v_mfma_f64_16x16x4_f64 v[72+0:79+0], v[vgprG2LB+4+0+2:vgprG2LB+4+0+2+1], v[vgprValuA_X1_I0+16+0+0:vgprValuA_X1_I0+16+0+0+1], v[72:79]
 // Ci += Ar*Bi
/* numPrefetchIter=0 */
/* dataAtIterA=0 numReadsIterA=2 skipReadsIterA=1 readsPerIterA=5 */
/* dataAtIterB=0 numReadsIterB=2 skipReadsIterB=1 readsPerIterB=1 */


/* closeLoop loopL finalLoop=0 tailLoop=1 */
s_sub_i32 s[sgprLoopCounterL], s[sgprLoopCounterL], 0x4 // dec counterL (tailLoop)
s_add_u32 s[sgprOrigLoopCounter], s[sgprOrigLoopCounter], 0x4 // inc counterL
s_cmp_le_i32 s[sgprLoopCounterL], 0x0              // counterL<=0
s_cbranch_scc1 TailLoopEndL_oddexit_37             // exit LoopL


/* iter 2 (last unrolled loop) */

s_waitcnt vmcnt(5)                                 // lgkmcnt=-1 vmcnt=5global read wait for DirectToVgpr

/*  grEndMfmaIndex:0, lwStartMfmaIndex:139, lwEndMfmaIndex:139  */
/*  numMfmaForLR:10, barrierMfmaIndex:149, LocalWritePerMfma:1.060 */
/*  mfmaIndex:40  */
_ds_load_b128 v[vgprValuA_X1_I0+0:vgprValuA_X1_I0+0+3], v[vgprLocalReadAddrA] offset:15360 // L -> Reg lro=960 swapByteOffset=0 ti=16 vIdx=0 rIdx=0 oIdx=0 buffer=1 iui=0
s_waitcnt lgkmcnt(1)                               // lgkmcnt=0 vmcnt=-1wait for prior local read local write old=0, new=1 newLW=0 newLR=1
v_add_f64 v[246:247], -v[vgprValuA_X0_I0+0+0+0+2:vgprValuA_X0_I0+0+0+0+2+1], 0 // Ai=-Ai
v_mfma_f64_16x16x4_f64 v[0+0:7+0], v[vgprG2LB+8+0:vgprG2LB+8+0+1], v[vgprValuA_X0_I0+0+0+0:vgprValuA_X0_I0+0+0+0+1], v[0:7]
 // Cr += Ar*Br
/*  mfmaIndex:41  */
_ds_load_b128 v[vgprValuA_X1_I0+4:vgprValuA_X1_I0+4+3], v[vgprLocalReadAddrA] offset:15616 // L -> Reg lro=960 swapByteOffset=0 ti=16 vIdx=1 rIdx=0 oIdx=0 buffer=1 iui=0
v_mfma_f64_16x16x4_f64 v[40+0:47+0], v[vgprG2LB+8+0:vgprG2LB+8+0+1], v[vgprValuA_X0_I0+0+0+0+2:vgprValuA_X0_I0+0+0+0+2+1], v[40:47]
 // Ci += Ai*Br
/*  mfmaIndex:42  */
_ds_load_b128 v[vgprValuA_X1_I0+8:vgprValuA_X1_I0+8+3], v[vgprLocalReadAddrA] offset:15872 // L -> Reg lro=960 swapByteOffset=0 ti=16 vIdx=2 rIdx=0 oIdx=0 buffer=1 iui=0
v_mfma_f64_16x16x4_f64 v[0+0:7+0], v[vgprG2LB+8+0+2:vgprG2LB+8+0+2+1], v[246:247], v[0:7]
 // Cr += -Ai*Bi
/*  mfmaIndex:43  */
_ds_load_b128 v[vgprValuA_X1_I0+12:vgprValuA_X1_I0+12+3], v[vgprLocalReadAddrA] offset:16128 // L -> Reg lro=960 swapByteOffset=0 ti=16 vIdx=3 rIdx=0 oIdx=0 buffer=1 iui=0
v_mfma_f64_16x16x4_f64 v[40+0:47+0], v[vgprG2LB+8+0+2:vgprG2LB+8+0+2+1], v[vgprValuA_X0_I0+0+0+0:vgprValuA_X0_I0+0+0+0+1], v[40:47]
 // Ci += Ar*Bi
/*  mfmaIndex:44  */
_ds_load_b128 v[vgprValuA_X1_I0+16:vgprValuA_X1_I0+16+3], v[vgprLocalReadAddrA] offset:16384 // L -> Reg lro=960 swapByteOffset=0 ti=16 vIdx=4 rIdx=0 oIdx=0 buffer=1 iui=0
/* localReadsVacancy: latencyLeft 1 */
v_add_f64 v[246:247], -v[vgprValuA_X0_I0+4+0+0+2:vgprValuA_X0_I0+4+0+0+2+1], 0 // Ai=-Ai
v_mfma_f64_16x16x4_f64 v[8+0:15+0], v[vgprG2LB+8+0:vgprG2LB+8+0+1], v[vgprValuA_X0_I0+4+0+0:vgprValuA_X0_I0+4+0+0+1], v[8:15]
 // Cr += Ar*Br
/*  mfmaIndex:45  */
/* localReadsVacancy: latencyLeft 5 */
v_mfma_f64_16x16x4_f64 v[48+0:55+0], v[vgprG2LB+8+0:vgprG2LB+8+0+1], v[vgprValuA_X0_I0+4+0+0+2:vgprValuA_X0_I0+4+0+0+2+1], v[48:55]
 // Ci += Ai*Br
/*  mfmaIndex:46  */
/* localReadsVacancy: latencyLeft 5 */
v_mfma_f64_16x16x4_f64 v[8+0:15+0], v[vgprG2LB+8+0+2:vgprG2LB+8+0+2+1], v[246:247], v[8:15]
 // Cr += -Ai*Bi
/*  mfmaIndex:47  */
/* localReadsVacancy: latencyLeft 5 */
v_mfma_f64_16x16x4_f64 v[48+0:55+0], v[vgprG2LB+8+0+2:vgprG2LB+8+0+2+1], v[vgprValuA_X0_I0+4+0+0:vgprValuA_X0_I0+4+0+0+1], v[48:55]
 // Ci += Ar*Bi
/*  mfmaIndex:48  */
/* localReadsVacancy: latencyLeft 5 */
v_add_f64 v[246:247], -v[vgprValuA_X0_I0+8+0+0+2:vgprValuA_X0_I0+8+0+0+2+1], 0 // Ai=-Ai
v_mfma_f64_16x16x4_f64 v[16+0:23+0], v[vgprG2LB+8+0:vgprG2LB+8+0+1], v[vgprValuA_X0_I0+8+0+0:vgprValuA_X0_I0+8+0+0+1], v[16:23]
 // Cr += Ar*Br
/*  mfmaIndex:49  */
/* localReadsVacancy: latencyLeft 5 */
v_mfma_f64_16x16x4_f64 v[56+0:63+0], v[vgprG2LB+8+0:vgprG2LB+8+0+1], v[vgprValuA_X0_I0+8+0+0+2:vgprValuA_X0_I0+8+0+0+2+1], v[56:63]
 // Ci += Ai*Br
/*  mfmaIndex:50  */
/* localReadsVacancy: latencyLeft 5 */
v_mfma_f64_16x16x4_f64 v[16+0:23+0], v[vgprG2LB+8+0+2:vgprG2LB+8+0+2+1], v[246:247], v[16:23]
 // Cr += -Ai*Bi
/*  mfmaIndex:51  */
/* localReadsVacancy: latencyLeft 5 */
v_mfma_f64_16x16x4_f64 v[56+0:63+0], v[vgprG2LB+8+0+2:vgprG2LB+8+0+2+1], v[vgprValuA_X0_I0+8+0+0:vgprValuA_X0_I0+8+0+0+1], v[56:63]
 // Ci += Ar*Bi
/*  mfmaIndex:52  */
	;; [unrolled: 17-line block ×3, first 2 shown]
/* localReadsVacancy: latencyLeft 5 */
v_add_f64 v[246:247], -v[vgprValuA_X0_I0+16+0+0+2:vgprValuA_X0_I0+16+0+0+2+1], 0 // Ai=-Ai
v_mfma_f64_16x16x4_f64 v[32+0:39+0], v[vgprG2LB+8+0:vgprG2LB+8+0+1], v[vgprValuA_X0_I0+16+0+0:vgprValuA_X0_I0+16+0+0+1], v[32:39]
 // Cr += Ar*Br
/*  mfmaIndex:57  */
/* localReadsVacancy: latencyLeft 5 */
v_mfma_f64_16x16x4_f64 v[72+0:79+0], v[vgprG2LB+8+0:vgprG2LB+8+0+1], v[vgprValuA_X0_I0+16+0+0+2:vgprValuA_X0_I0+16+0+0+2+1], v[72:79]
 // Ci += Ai*Br
/*  mfmaIndex:58  */
/* localReadsVacancy: latencyLeft 5 */
v_mfma_f64_16x16x4_f64 v[32+0:39+0], v[vgprG2LB+8+0+2:vgprG2LB+8+0+2+1], v[246:247], v[32:39]
 // Cr += -Ai*Bi
/*  mfmaIndex:59  */
/* localReadsVacancy: latencyLeft 5 */
v_mfma_f64_16x16x4_f64 v[72+0:79+0], v[vgprG2LB+8+0+2:vgprG2LB+8+0+2+1], v[vgprValuA_X0_I0+16+0+0:vgprValuA_X0_I0+16+0+0+1], v[72:79]
 // Ci += Ar*Bi
/* numPrefetchIter=0 */
/* dataAtIterA=1 numReadsIterA=3 skipReadsIterA=1 readsPerIterA=5 */
/* dataAtIterB=1 numReadsIterB=3 skipReadsIterB=1 readsPerIterB=1 */


/* closeLoop loopL finalLoop=0 tailLoop=1 */
s_sub_i32 s[sgprLoopCounterL], s[sgprLoopCounterL], 0x4 // dec counterL (tailLoop)
s_add_u32 s[sgprOrigLoopCounter], s[sgprOrigLoopCounter], 0x4 // inc counterL
s_cmp_le_i32 s[sgprLoopCounterL], 0x0              // counterL<=0
s_cbranch_scc1 TailLoopEndL_oddexit_37             // exit LoopL


/* iter 3 (last unrolled loop) */

s_waitcnt vmcnt(4)                                 // lgkmcnt=-1 vmcnt=4global read wait for DirectToVgpr

/*  grEndMfmaIndex:0, lwStartMfmaIndex:139, lwEndMfmaIndex:139  */
/*  numMfmaForLR:10, barrierMfmaIndex:149, LocalWritePerMfma:1.060 */
/*  mfmaIndex:60  */
_ds_load_b128 v[vgprValuA_X0_I0+0:vgprValuA_X0_I0+0+3], v[vgprLocalReadAddrA] offset:20480 // L -> Reg lro=1280 swapByteOffset=0 ti=16 vIdx=0 rIdx=0 oIdx=0 buffer=0 iui=0
s_waitcnt lgkmcnt(1)                               // lgkmcnt=0 vmcnt=-1wait for prior local read local write old=0, new=1 newLW=0 newLR=1
v_add_f64 v[246:247], -v[vgprValuA_X1_I0+0+0+0+2:vgprValuA_X1_I0+0+0+0+2+1], 0 // Ai=-Ai
v_mfma_f64_16x16x4_f64 v[0+0:7+0], v[vgprG2LB+12+0:vgprG2LB+12+0+1], v[vgprValuA_X1_I0+0+0+0:vgprValuA_X1_I0+0+0+0+1], v[0:7]
 // Cr += Ar*Br
/*  mfmaIndex:61  */
_ds_load_b128 v[vgprValuA_X0_I0+4:vgprValuA_X0_I0+4+3], v[vgprLocalReadAddrA] offset:20736 // L -> Reg lro=1280 swapByteOffset=0 ti=16 vIdx=1 rIdx=0 oIdx=0 buffer=0 iui=0
v_mfma_f64_16x16x4_f64 v[40+0:47+0], v[vgprG2LB+12+0:vgprG2LB+12+0+1], v[vgprValuA_X1_I0+0+0+0+2:vgprValuA_X1_I0+0+0+0+2+1], v[40:47]
 // Ci += Ai*Br
/*  mfmaIndex:62  */
_ds_load_b128 v[vgprValuA_X0_I0+8:vgprValuA_X0_I0+8+3], v[vgprLocalReadAddrA] offset:20992 // L -> Reg lro=1280 swapByteOffset=0 ti=16 vIdx=2 rIdx=0 oIdx=0 buffer=0 iui=0
v_mfma_f64_16x16x4_f64 v[0+0:7+0], v[vgprG2LB+12+0+2:vgprG2LB+12+0+2+1], v[246:247], v[0:7]
 // Cr += -Ai*Bi
/*  mfmaIndex:63  */
_ds_load_b128 v[vgprValuA_X0_I0+12:vgprValuA_X0_I0+12+3], v[vgprLocalReadAddrA] offset:21248 // L -> Reg lro=1280 swapByteOffset=0 ti=16 vIdx=3 rIdx=0 oIdx=0 buffer=0 iui=0
v_mfma_f64_16x16x4_f64 v[40+0:47+0], v[vgprG2LB+12+0+2:vgprG2LB+12+0+2+1], v[vgprValuA_X1_I0+0+0+0:vgprValuA_X1_I0+0+0+0+1], v[40:47]
 // Ci += Ar*Bi
/*  mfmaIndex:64  */
_ds_load_b128 v[vgprValuA_X0_I0+16:vgprValuA_X0_I0+16+3], v[vgprLocalReadAddrA] offset:21504 // L -> Reg lro=1280 swapByteOffset=0 ti=16 vIdx=4 rIdx=0 oIdx=0 buffer=0 iui=0
/* localReadsVacancy: latencyLeft 1 */
v_add_f64 v[246:247], -v[vgprValuA_X1_I0+4+0+0+2:vgprValuA_X1_I0+4+0+0+2+1], 0 // Ai=-Ai
v_mfma_f64_16x16x4_f64 v[8+0:15+0], v[vgprG2LB+12+0:vgprG2LB+12+0+1], v[vgprValuA_X1_I0+4+0+0:vgprValuA_X1_I0+4+0+0+1], v[8:15]
 // Cr += Ar*Br
/*  mfmaIndex:65  */
/* localReadsVacancy: latencyLeft 5 */
v_mfma_f64_16x16x4_f64 v[48+0:55+0], v[vgprG2LB+12+0:vgprG2LB+12+0+1], v[vgprValuA_X1_I0+4+0+0+2:vgprValuA_X1_I0+4+0+0+2+1], v[48:55]
 // Ci += Ai*Br
/*  mfmaIndex:66  */
/* localReadsVacancy: latencyLeft 5 */
v_mfma_f64_16x16x4_f64 v[8+0:15+0], v[vgprG2LB+12+0+2:vgprG2LB+12+0+2+1], v[246:247], v[8:15]
 // Cr += -Ai*Bi
/*  mfmaIndex:67  */
/* localReadsVacancy: latencyLeft 5 */
v_mfma_f64_16x16x4_f64 v[48+0:55+0], v[vgprG2LB+12+0+2:vgprG2LB+12+0+2+1], v[vgprValuA_X1_I0+4+0+0:vgprValuA_X1_I0+4+0+0+1], v[48:55]
 // Ci += Ar*Bi
/*  mfmaIndex:68  */
/* localReadsVacancy: latencyLeft 5 */
v_add_f64 v[246:247], -v[vgprValuA_X1_I0+8+0+0+2:vgprValuA_X1_I0+8+0+0+2+1], 0 // Ai=-Ai
v_mfma_f64_16x16x4_f64 v[16+0:23+0], v[vgprG2LB+12+0:vgprG2LB+12+0+1], v[vgprValuA_X1_I0+8+0+0:vgprValuA_X1_I0+8+0+0+1], v[16:23]
 // Cr += Ar*Br
/*  mfmaIndex:69  */
/* localReadsVacancy: latencyLeft 5 */
v_mfma_f64_16x16x4_f64 v[56+0:63+0], v[vgprG2LB+12+0:vgprG2LB+12+0+1], v[vgprValuA_X1_I0+8+0+0+2:vgprValuA_X1_I0+8+0+0+2+1], v[56:63]
 // Ci += Ai*Br
/*  mfmaIndex:70  */
/* localReadsVacancy: latencyLeft 5 */
v_mfma_f64_16x16x4_f64 v[16+0:23+0], v[vgprG2LB+12+0+2:vgprG2LB+12+0+2+1], v[246:247], v[16:23]
 // Cr += -Ai*Bi
/*  mfmaIndex:71  */
/* localReadsVacancy: latencyLeft 5 */
v_mfma_f64_16x16x4_f64 v[56+0:63+0], v[vgprG2LB+12+0+2:vgprG2LB+12+0+2+1], v[vgprValuA_X1_I0+8+0+0:vgprValuA_X1_I0+8+0+0+1], v[56:63]
 // Ci += Ar*Bi
/*  mfmaIndex:72  */
	;; [unrolled: 17-line block ×3, first 2 shown]
/* localReadsVacancy: latencyLeft 5 */
v_add_f64 v[246:247], -v[vgprValuA_X1_I0+16+0+0+2:vgprValuA_X1_I0+16+0+0+2+1], 0 // Ai=-Ai
v_mfma_f64_16x16x4_f64 v[32+0:39+0], v[vgprG2LB+12+0:vgprG2LB+12+0+1], v[vgprValuA_X1_I0+16+0+0:vgprValuA_X1_I0+16+0+0+1], v[32:39]
 // Cr += Ar*Br
/*  mfmaIndex:77  */
/* localReadsVacancy: latencyLeft 5 */
v_mfma_f64_16x16x4_f64 v[72+0:79+0], v[vgprG2LB+12+0:vgprG2LB+12+0+1], v[vgprValuA_X1_I0+16+0+0+2:vgprValuA_X1_I0+16+0+0+2+1], v[72:79]
 // Ci += Ai*Br
/*  mfmaIndex:78  */
/* localReadsVacancy: latencyLeft 5 */
v_mfma_f64_16x16x4_f64 v[32+0:39+0], v[vgprG2LB+12+0+2:vgprG2LB+12+0+2+1], v[246:247], v[32:39]
 // Cr += -Ai*Bi
/*  mfmaIndex:79  */
/* localReadsVacancy: latencyLeft 5 */
v_mfma_f64_16x16x4_f64 v[72+0:79+0], v[vgprG2LB+12+0+2:vgprG2LB+12+0+2+1], v[vgprValuA_X1_I0+16+0+0:vgprValuA_X1_I0+16+0+0+1], v[72:79]
 // Ci += Ar*Bi
/* numPrefetchIter=0 */
/* dataAtIterA=2 numReadsIterA=4 skipReadsIterA=1 readsPerIterA=5 */
/* dataAtIterB=2 numReadsIterB=4 skipReadsIterB=1 readsPerIterB=1 */


/* closeLoop loopL finalLoop=0 tailLoop=1 */
s_sub_i32 s[sgprLoopCounterL], s[sgprLoopCounterL], 0x4 // dec counterL (tailLoop)
s_add_u32 s[sgprOrigLoopCounter], s[sgprOrigLoopCounter], 0x4 // inc counterL
s_cmp_le_i32 s[sgprLoopCounterL], 0x0              // counterL<=0
s_cbranch_scc1 TailLoopEndL_oddexit_37             // exit LoopL


/* iter 4 (last unrolled loop) */

s_waitcnt vmcnt(3)                                 // lgkmcnt=-1 vmcnt=3global read wait for DirectToVgpr

/*  grEndMfmaIndex:0, lwStartMfmaIndex:139, lwEndMfmaIndex:139  */
/*  numMfmaForLR:10, barrierMfmaIndex:149, LocalWritePerMfma:1.060 */
/*  mfmaIndex:80  */
_ds_load_b128 v[vgprValuA_X1_I0+0:vgprValuA_X1_I0+0+3], v[vgprLocalReadAddrA] offset:25600 // L -> Reg lro=1600 swapByteOffset=0 ti=16 vIdx=0 rIdx=0 oIdx=0 buffer=1 iui=0
s_waitcnt lgkmcnt(1)                               // lgkmcnt=0 vmcnt=-1wait for prior local read local write old=0, new=1 newLW=0 newLR=1
v_add_f64 v[246:247], -v[vgprValuA_X0_I0+0+0+0+2:vgprValuA_X0_I0+0+0+0+2+1], 0 // Ai=-Ai
v_mfma_f64_16x16x4_f64 v[0+0:7+0], v[vgprG2LB+16+0:vgprG2LB+16+0+1], v[vgprValuA_X0_I0+0+0+0:vgprValuA_X0_I0+0+0+0+1], v[0:7]
 // Cr += Ar*Br
/*  mfmaIndex:81  */
_ds_load_b128 v[vgprValuA_X1_I0+4:vgprValuA_X1_I0+4+3], v[vgprLocalReadAddrA] offset:25856 // L -> Reg lro=1600 swapByteOffset=0 ti=16 vIdx=1 rIdx=0 oIdx=0 buffer=1 iui=0
v_mfma_f64_16x16x4_f64 v[40+0:47+0], v[vgprG2LB+16+0:vgprG2LB+16+0+1], v[vgprValuA_X0_I0+0+0+0+2:vgprValuA_X0_I0+0+0+0+2+1], v[40:47]
 // Ci += Ai*Br
/*  mfmaIndex:82  */
_ds_load_b128 v[vgprValuA_X1_I0+8:vgprValuA_X1_I0+8+3], v[vgprLocalReadAddrA] offset:26112 // L -> Reg lro=1600 swapByteOffset=0 ti=16 vIdx=2 rIdx=0 oIdx=0 buffer=1 iui=0
v_mfma_f64_16x16x4_f64 v[0+0:7+0], v[vgprG2LB+16+0+2:vgprG2LB+16+0+2+1], v[246:247], v[0:7]
 // Cr += -Ai*Bi
/*  mfmaIndex:83  */
_ds_load_b128 v[vgprValuA_X1_I0+12:vgprValuA_X1_I0+12+3], v[vgprLocalReadAddrA] offset:26368 // L -> Reg lro=1600 swapByteOffset=0 ti=16 vIdx=3 rIdx=0 oIdx=0 buffer=1 iui=0
v_mfma_f64_16x16x4_f64 v[40+0:47+0], v[vgprG2LB+16+0+2:vgprG2LB+16+0+2+1], v[vgprValuA_X0_I0+0+0+0:vgprValuA_X0_I0+0+0+0+1], v[40:47]
 // Ci += Ar*Bi
/*  mfmaIndex:84  */
_ds_load_b128 v[vgprValuA_X1_I0+16:vgprValuA_X1_I0+16+3], v[vgprLocalReadAddrA] offset:26624 // L -> Reg lro=1600 swapByteOffset=0 ti=16 vIdx=4 rIdx=0 oIdx=0 buffer=1 iui=0
/* localReadsVacancy: latencyLeft 1 */
v_add_f64 v[246:247], -v[vgprValuA_X0_I0+4+0+0+2:vgprValuA_X0_I0+4+0+0+2+1], 0 // Ai=-Ai
v_mfma_f64_16x16x4_f64 v[8+0:15+0], v[vgprG2LB+16+0:vgprG2LB+16+0+1], v[vgprValuA_X0_I0+4+0+0:vgprValuA_X0_I0+4+0+0+1], v[8:15]
 // Cr += Ar*Br
/*  mfmaIndex:85  */
/* localReadsVacancy: latencyLeft 5 */
v_mfma_f64_16x16x4_f64 v[48+0:55+0], v[vgprG2LB+16+0:vgprG2LB+16+0+1], v[vgprValuA_X0_I0+4+0+0+2:vgprValuA_X0_I0+4+0+0+2+1], v[48:55]
 // Ci += Ai*Br
/*  mfmaIndex:86  */
/* localReadsVacancy: latencyLeft 5 */
v_mfma_f64_16x16x4_f64 v[8+0:15+0], v[vgprG2LB+16+0+2:vgprG2LB+16+0+2+1], v[246:247], v[8:15]
 // Cr += -Ai*Bi
/*  mfmaIndex:87  */
/* localReadsVacancy: latencyLeft 5 */
v_mfma_f64_16x16x4_f64 v[48+0:55+0], v[vgprG2LB+16+0+2:vgprG2LB+16+0+2+1], v[vgprValuA_X0_I0+4+0+0:vgprValuA_X0_I0+4+0+0+1], v[48:55]
 // Ci += Ar*Bi
/*  mfmaIndex:88  */
/* localReadsVacancy: latencyLeft 5 */
v_add_f64 v[246:247], -v[vgprValuA_X0_I0+8+0+0+2:vgprValuA_X0_I0+8+0+0+2+1], 0 // Ai=-Ai
v_mfma_f64_16x16x4_f64 v[16+0:23+0], v[vgprG2LB+16+0:vgprG2LB+16+0+1], v[vgprValuA_X0_I0+8+0+0:vgprValuA_X0_I0+8+0+0+1], v[16:23]
 // Cr += Ar*Br
/*  mfmaIndex:89  */
/* localReadsVacancy: latencyLeft 5 */
v_mfma_f64_16x16x4_f64 v[56+0:63+0], v[vgprG2LB+16+0:vgprG2LB+16+0+1], v[vgprValuA_X0_I0+8+0+0+2:vgprValuA_X0_I0+8+0+0+2+1], v[56:63]
 // Ci += Ai*Br
/*  mfmaIndex:90  */
/* localReadsVacancy: latencyLeft 5 */
v_mfma_f64_16x16x4_f64 v[16+0:23+0], v[vgprG2LB+16+0+2:vgprG2LB+16+0+2+1], v[246:247], v[16:23]
 // Cr += -Ai*Bi
/*  mfmaIndex:91  */
/* localReadsVacancy: latencyLeft 5 */
v_mfma_f64_16x16x4_f64 v[56+0:63+0], v[vgprG2LB+16+0+2:vgprG2LB+16+0+2+1], v[vgprValuA_X0_I0+8+0+0:vgprValuA_X0_I0+8+0+0+1], v[56:63]
 // Ci += Ar*Bi
/*  mfmaIndex:92  */
	;; [unrolled: 17-line block ×3, first 2 shown]
/* localReadsVacancy: latencyLeft 5 */
v_add_f64 v[246:247], -v[vgprValuA_X0_I0+16+0+0+2:vgprValuA_X0_I0+16+0+0+2+1], 0 // Ai=-Ai
v_mfma_f64_16x16x4_f64 v[32+0:39+0], v[vgprG2LB+16+0:vgprG2LB+16+0+1], v[vgprValuA_X0_I0+16+0+0:vgprValuA_X0_I0+16+0+0+1], v[32:39]
 // Cr += Ar*Br
/*  mfmaIndex:97  */
/* localReadsVacancy: latencyLeft 5 */
v_mfma_f64_16x16x4_f64 v[72+0:79+0], v[vgprG2LB+16+0:vgprG2LB+16+0+1], v[vgprValuA_X0_I0+16+0+0+2:vgprValuA_X0_I0+16+0+0+2+1], v[72:79]
 // Ci += Ai*Br
/*  mfmaIndex:98  */
/* localReadsVacancy: latencyLeft 5 */
v_mfma_f64_16x16x4_f64 v[32+0:39+0], v[vgprG2LB+16+0+2:vgprG2LB+16+0+2+1], v[246:247], v[32:39]
 // Cr += -Ai*Bi
/*  mfmaIndex:99  */
/* localReadsVacancy: latencyLeft 5 */
v_mfma_f64_16x16x4_f64 v[72+0:79+0], v[vgprG2LB+16+0+2:vgprG2LB+16+0+2+1], v[vgprValuA_X0_I0+16+0+0:vgprValuA_X0_I0+16+0+0+1], v[72:79]
 // Ci += Ar*Bi
/* numPrefetchIter=0 */
/* dataAtIterA=3 numReadsIterA=5 skipReadsIterA=1 readsPerIterA=5 */
/* dataAtIterB=3 numReadsIterB=5 skipReadsIterB=1 readsPerIterB=1 */


/* closeLoop loopL finalLoop=0 tailLoop=1 */
s_sub_i32 s[sgprLoopCounterL], s[sgprLoopCounterL], 0x4 // dec counterL (tailLoop)
s_add_u32 s[sgprOrigLoopCounter], s[sgprOrigLoopCounter], 0x4 // inc counterL
s_cmp_le_i32 s[sgprLoopCounterL], 0x0              // counterL<=0
s_cbranch_scc1 TailLoopEndL_oddexit_37             // exit LoopL


/* iter 5 (last unrolled loop) */

s_waitcnt vmcnt(2)                                 // lgkmcnt=-1 vmcnt=2global read wait for DirectToVgpr

/*  grEndMfmaIndex:0, lwStartMfmaIndex:139, lwEndMfmaIndex:139  */
/*  numMfmaForLR:10, barrierMfmaIndex:149, LocalWritePerMfma:1.060 */
/*  mfmaIndex:100  */
_ds_load_b128 v[vgprValuA_X0_I0+0:vgprValuA_X0_I0+0+3], v[vgprLocalReadAddrA] offset:30720 // L -> Reg lro=1920 swapByteOffset=0 ti=16 vIdx=0 rIdx=0 oIdx=0 buffer=0 iui=0
s_waitcnt lgkmcnt(1)                               // lgkmcnt=0 vmcnt=-1wait for prior local read local write old=0, new=1 newLW=0 newLR=1
v_add_f64 v[246:247], -v[vgprValuA_X1_I0+0+0+0+2:vgprValuA_X1_I0+0+0+0+2+1], 0 // Ai=-Ai
v_mfma_f64_16x16x4_f64 v[0+0:7+0], v[vgprG2LB+20+0:vgprG2LB+20+0+1], v[vgprValuA_X1_I0+0+0+0:vgprValuA_X1_I0+0+0+0+1], v[0:7]
 // Cr += Ar*Br
/*  mfmaIndex:101  */
_ds_load_b128 v[vgprValuA_X0_I0+4:vgprValuA_X0_I0+4+3], v[vgprLocalReadAddrA] offset:30976 // L -> Reg lro=1920 swapByteOffset=0 ti=16 vIdx=1 rIdx=0 oIdx=0 buffer=0 iui=0
v_mfma_f64_16x16x4_f64 v[40+0:47+0], v[vgprG2LB+20+0:vgprG2LB+20+0+1], v[vgprValuA_X1_I0+0+0+0+2:vgprValuA_X1_I0+0+0+0+2+1], v[40:47]
 // Ci += Ai*Br
/*  mfmaIndex:102  */
_ds_load_b128 v[vgprValuA_X0_I0+8:vgprValuA_X0_I0+8+3], v[vgprLocalReadAddrA] offset:31232 // L -> Reg lro=1920 swapByteOffset=0 ti=16 vIdx=2 rIdx=0 oIdx=0 buffer=0 iui=0
v_mfma_f64_16x16x4_f64 v[0+0:7+0], v[vgprG2LB+20+0+2:vgprG2LB+20+0+2+1], v[246:247], v[0:7]
 // Cr += -Ai*Bi
/*  mfmaIndex:103  */
_ds_load_b128 v[vgprValuA_X0_I0+12:vgprValuA_X0_I0+12+3], v[vgprLocalReadAddrA] offset:31488 // L -> Reg lro=1920 swapByteOffset=0 ti=16 vIdx=3 rIdx=0 oIdx=0 buffer=0 iui=0
v_mfma_f64_16x16x4_f64 v[40+0:47+0], v[vgprG2LB+20+0+2:vgprG2LB+20+0+2+1], v[vgprValuA_X1_I0+0+0+0:vgprValuA_X1_I0+0+0+0+1], v[40:47]
 // Ci += Ar*Bi
/*  mfmaIndex:104  */
_ds_load_b128 v[vgprValuA_X0_I0+16:vgprValuA_X0_I0+16+3], v[vgprLocalReadAddrA] offset:31744 // L -> Reg lro=1920 swapByteOffset=0 ti=16 vIdx=4 rIdx=0 oIdx=0 buffer=0 iui=0
/* localReadsVacancy: latencyLeft 1 */
v_add_f64 v[246:247], -v[vgprValuA_X1_I0+4+0+0+2:vgprValuA_X1_I0+4+0+0+2+1], 0 // Ai=-Ai
v_mfma_f64_16x16x4_f64 v[8+0:15+0], v[vgprG2LB+20+0:vgprG2LB+20+0+1], v[vgprValuA_X1_I0+4+0+0:vgprValuA_X1_I0+4+0+0+1], v[8:15]
 // Cr += Ar*Br
/*  mfmaIndex:105  */
/* localReadsVacancy: latencyLeft 5 */
v_mfma_f64_16x16x4_f64 v[48+0:55+0], v[vgprG2LB+20+0:vgprG2LB+20+0+1], v[vgprValuA_X1_I0+4+0+0+2:vgprValuA_X1_I0+4+0+0+2+1], v[48:55]
 // Ci += Ai*Br
/*  mfmaIndex:106  */
/* localReadsVacancy: latencyLeft 5 */
v_mfma_f64_16x16x4_f64 v[8+0:15+0], v[vgprG2LB+20+0+2:vgprG2LB+20+0+2+1], v[246:247], v[8:15]
 // Cr += -Ai*Bi
/*  mfmaIndex:107  */
/* localReadsVacancy: latencyLeft 5 */
v_mfma_f64_16x16x4_f64 v[48+0:55+0], v[vgprG2LB+20+0+2:vgprG2LB+20+0+2+1], v[vgprValuA_X1_I0+4+0+0:vgprValuA_X1_I0+4+0+0+1], v[48:55]
 // Ci += Ar*Bi
/*  mfmaIndex:108  */
/* localReadsVacancy: latencyLeft 5 */
v_add_f64 v[246:247], -v[vgprValuA_X1_I0+8+0+0+2:vgprValuA_X1_I0+8+0+0+2+1], 0 // Ai=-Ai
v_mfma_f64_16x16x4_f64 v[16+0:23+0], v[vgprG2LB+20+0:vgprG2LB+20+0+1], v[vgprValuA_X1_I0+8+0+0:vgprValuA_X1_I0+8+0+0+1], v[16:23]
 // Cr += Ar*Br
/*  mfmaIndex:109  */
/* localReadsVacancy: latencyLeft 5 */
v_mfma_f64_16x16x4_f64 v[56+0:63+0], v[vgprG2LB+20+0:vgprG2LB+20+0+1], v[vgprValuA_X1_I0+8+0+0+2:vgprValuA_X1_I0+8+0+0+2+1], v[56:63]
 // Ci += Ai*Br
/*  mfmaIndex:110  */
/* localReadsVacancy: latencyLeft 5 */
v_mfma_f64_16x16x4_f64 v[16+0:23+0], v[vgprG2LB+20+0+2:vgprG2LB+20+0+2+1], v[246:247], v[16:23]
 // Cr += -Ai*Bi
/*  mfmaIndex:111  */
/* localReadsVacancy: latencyLeft 5 */
v_mfma_f64_16x16x4_f64 v[56+0:63+0], v[vgprG2LB+20+0+2:vgprG2LB+20+0+2+1], v[vgprValuA_X1_I0+8+0+0:vgprValuA_X1_I0+8+0+0+1], v[56:63]
 // Ci += Ar*Bi
/*  mfmaIndex:112  */
	;; [unrolled: 17-line block ×3, first 2 shown]
/* localReadsVacancy: latencyLeft 5 */
v_add_f64 v[246:247], -v[vgprValuA_X1_I0+16+0+0+2:vgprValuA_X1_I0+16+0+0+2+1], 0 // Ai=-Ai
v_mfma_f64_16x16x4_f64 v[32+0:39+0], v[vgprG2LB+20+0:vgprG2LB+20+0+1], v[vgprValuA_X1_I0+16+0+0:vgprValuA_X1_I0+16+0+0+1], v[32:39]
 // Cr += Ar*Br
/*  mfmaIndex:117  */
/* localReadsVacancy: latencyLeft 5 */
v_mfma_f64_16x16x4_f64 v[72+0:79+0], v[vgprG2LB+20+0:vgprG2LB+20+0+1], v[vgprValuA_X1_I0+16+0+0+2:vgprValuA_X1_I0+16+0+0+2+1], v[72:79]
 // Ci += Ai*Br
/*  mfmaIndex:118  */
/* localReadsVacancy: latencyLeft 5 */
v_mfma_f64_16x16x4_f64 v[32+0:39+0], v[vgprG2LB+20+0+2:vgprG2LB+20+0+2+1], v[246:247], v[32:39]
 // Cr += -Ai*Bi
/*  mfmaIndex:119  */
/* localReadsVacancy: latencyLeft 5 */
v_mfma_f64_16x16x4_f64 v[72+0:79+0], v[vgprG2LB+20+0+2:vgprG2LB+20+0+2+1], v[vgprValuA_X1_I0+16+0+0:vgprValuA_X1_I0+16+0+0+1], v[72:79]
 // Ci += Ar*Bi
/* numPrefetchIter=0 */
/* dataAtIterA=4 numReadsIterA=6 skipReadsIterA=1 readsPerIterA=5 */
/* dataAtIterB=4 numReadsIterB=6 skipReadsIterB=1 readsPerIterB=1 */


/* closeLoop loopL finalLoop=0 tailLoop=1 */
s_sub_i32 s[sgprLoopCounterL], s[sgprLoopCounterL], 0x4 // dec counterL (tailLoop)
s_add_u32 s[sgprOrigLoopCounter], s[sgprOrigLoopCounter], 0x4 // inc counterL
s_cmp_le_i32 s[sgprLoopCounterL], 0x0              // counterL<=0
s_cbranch_scc1 TailLoopEndL_oddexit_37             // exit LoopL


/* iter 6 (last unrolled loop) */

s_waitcnt vmcnt(1)                                 // lgkmcnt=-1 vmcnt=1global read wait for DirectToVgpr

/*  grEndMfmaIndex:0, lwStartMfmaIndex:139, lwEndMfmaIndex:139  */
/*  numMfmaForLR:10, barrierMfmaIndex:149, LocalWritePerMfma:1.060 */
/*  mfmaIndex:120  */
_ds_load_b128 v[vgprValuA_X1_I0+0:vgprValuA_X1_I0+0+3], v[vgprLocalReadAddrA] offset:35840 // L -> Reg lro=2240 swapByteOffset=0 ti=16 vIdx=0 rIdx=0 oIdx=0 buffer=1 iui=0
s_waitcnt lgkmcnt(1)                               // lgkmcnt=0 vmcnt=-1wait for prior local read local write old=0, new=1 newLW=0 newLR=1
v_add_f64 v[246:247], -v[vgprValuA_X0_I0+0+0+0+2:vgprValuA_X0_I0+0+0+0+2+1], 0 // Ai=-Ai
v_mfma_f64_16x16x4_f64 v[0+0:7+0], v[vgprG2LB+24+0:vgprG2LB+24+0+1], v[vgprValuA_X0_I0+0+0+0:vgprValuA_X0_I0+0+0+0+1], v[0:7]
 // Cr += Ar*Br
/*  mfmaIndex:121  */
_ds_load_b128 v[vgprValuA_X1_I0+4:vgprValuA_X1_I0+4+3], v[vgprLocalReadAddrA] offset:36096 // L -> Reg lro=2240 swapByteOffset=0 ti=16 vIdx=1 rIdx=0 oIdx=0 buffer=1 iui=0
v_mfma_f64_16x16x4_f64 v[40+0:47+0], v[vgprG2LB+24+0:vgprG2LB+24+0+1], v[vgprValuA_X0_I0+0+0+0+2:vgprValuA_X0_I0+0+0+0+2+1], v[40:47]
 // Ci += Ai*Br
/*  mfmaIndex:122  */
_ds_load_b128 v[vgprValuA_X1_I0+8:vgprValuA_X1_I0+8+3], v[vgprLocalReadAddrA] offset:36352 // L -> Reg lro=2240 swapByteOffset=0 ti=16 vIdx=2 rIdx=0 oIdx=0 buffer=1 iui=0
v_mfma_f64_16x16x4_f64 v[0+0:7+0], v[vgprG2LB+24+0+2:vgprG2LB+24+0+2+1], v[246:247], v[0:7]
 // Cr += -Ai*Bi
/*  mfmaIndex:123  */
_ds_load_b128 v[vgprValuA_X1_I0+12:vgprValuA_X1_I0+12+3], v[vgprLocalReadAddrA] offset:36608 // L -> Reg lro=2240 swapByteOffset=0 ti=16 vIdx=3 rIdx=0 oIdx=0 buffer=1 iui=0
v_mfma_f64_16x16x4_f64 v[40+0:47+0], v[vgprG2LB+24+0+2:vgprG2LB+24+0+2+1], v[vgprValuA_X0_I0+0+0+0:vgprValuA_X0_I0+0+0+0+1], v[40:47]
 // Ci += Ar*Bi
/*  mfmaIndex:124  */
_ds_load_b128 v[vgprValuA_X1_I0+16:vgprValuA_X1_I0+16+3], v[vgprLocalReadAddrA] offset:36864 // L -> Reg lro=2240 swapByteOffset=0 ti=16 vIdx=4 rIdx=0 oIdx=0 buffer=1 iui=0
/* localReadsVacancy: latencyLeft 1 */
v_add_f64 v[246:247], -v[vgprValuA_X0_I0+4+0+0+2:vgprValuA_X0_I0+4+0+0+2+1], 0 // Ai=-Ai
v_mfma_f64_16x16x4_f64 v[8+0:15+0], v[vgprG2LB+24+0:vgprG2LB+24+0+1], v[vgprValuA_X0_I0+4+0+0:vgprValuA_X0_I0+4+0+0+1], v[8:15]
 // Cr += Ar*Br
/*  mfmaIndex:125  */
/* localReadsVacancy: latencyLeft 5 */
v_mfma_f64_16x16x4_f64 v[48+0:55+0], v[vgprG2LB+24+0:vgprG2LB+24+0+1], v[vgprValuA_X0_I0+4+0+0+2:vgprValuA_X0_I0+4+0+0+2+1], v[48:55]
 // Ci += Ai*Br
/*  mfmaIndex:126  */
/* localReadsVacancy: latencyLeft 5 */
v_mfma_f64_16x16x4_f64 v[8+0:15+0], v[vgprG2LB+24+0+2:vgprG2LB+24+0+2+1], v[246:247], v[8:15]
 // Cr += -Ai*Bi
/*  mfmaIndex:127  */
/* localReadsVacancy: latencyLeft 5 */
v_mfma_f64_16x16x4_f64 v[48+0:55+0], v[vgprG2LB+24+0+2:vgprG2LB+24+0+2+1], v[vgprValuA_X0_I0+4+0+0:vgprValuA_X0_I0+4+0+0+1], v[48:55]
 // Ci += Ar*Bi
/*  mfmaIndex:128  */
/* localReadsVacancy: latencyLeft 5 */
v_add_f64 v[246:247], -v[vgprValuA_X0_I0+8+0+0+2:vgprValuA_X0_I0+8+0+0+2+1], 0 // Ai=-Ai
v_mfma_f64_16x16x4_f64 v[16+0:23+0], v[vgprG2LB+24+0:vgprG2LB+24+0+1], v[vgprValuA_X0_I0+8+0+0:vgprValuA_X0_I0+8+0+0+1], v[16:23]
 // Cr += Ar*Br
/*  mfmaIndex:129  */
/* localReadsVacancy: latencyLeft 5 */
v_mfma_f64_16x16x4_f64 v[56+0:63+0], v[vgprG2LB+24+0:vgprG2LB+24+0+1], v[vgprValuA_X0_I0+8+0+0+2:vgprValuA_X0_I0+8+0+0+2+1], v[56:63]
 // Ci += Ai*Br
/*  mfmaIndex:130  */
/* localReadsVacancy: latencyLeft 5 */
v_mfma_f64_16x16x4_f64 v[16+0:23+0], v[vgprG2LB+24+0+2:vgprG2LB+24+0+2+1], v[246:247], v[16:23]
 // Cr += -Ai*Bi
/*  mfmaIndex:131  */
/* localReadsVacancy: latencyLeft 5 */
v_mfma_f64_16x16x4_f64 v[56+0:63+0], v[vgprG2LB+24+0+2:vgprG2LB+24+0+2+1], v[vgprValuA_X0_I0+8+0+0:vgprValuA_X0_I0+8+0+0+1], v[56:63]
 // Ci += Ar*Bi
/*  mfmaIndex:132  */
	;; [unrolled: 17-line block ×3, first 2 shown]
/* localReadsVacancy: latencyLeft 5 */
v_add_f64 v[246:247], -v[vgprValuA_X0_I0+16+0+0+2:vgprValuA_X0_I0+16+0+0+2+1], 0 // Ai=-Ai
v_mfma_f64_16x16x4_f64 v[32+0:39+0], v[vgprG2LB+24+0:vgprG2LB+24+0+1], v[vgprValuA_X0_I0+16+0+0:vgprValuA_X0_I0+16+0+0+1], v[32:39]
 // Cr += Ar*Br
/*  mfmaIndex:137  */
/* localReadsVacancy: latencyLeft 5 */
v_mfma_f64_16x16x4_f64 v[72+0:79+0], v[vgprG2LB+24+0:vgprG2LB+24+0+1], v[vgprValuA_X0_I0+16+0+0+2:vgprValuA_X0_I0+16+0+0+2+1], v[72:79]
 // Ci += Ai*Br
/*  mfmaIndex:138  */
/* localReadsVacancy: latencyLeft 5 */
/* 1 LDS buffer: read-sync-write */
s_waitcnt lgkmcnt(0)                               // 
s_barrier                                          // 
v_mfma_f64_16x16x4_f64 v[32+0:39+0], v[vgprG2LB+24+0+2:vgprG2LB+24+0+2+1], v[246:247], v[32:39]
 // Cr += -Ai*Bi
/*  mfmaIndex:139  */
/* localReadsVacancy: latencyLeft 5 */
v_mfma_f64_16x16x4_f64 v[72+0:79+0], v[vgprG2LB+24+0+2:vgprG2LB+24+0+2+1], v[vgprValuA_X0_I0+16+0+0:vgprValuA_X0_I0+16+0+0+1], v[72:79]
 // Ci += Ar*Bi
/* numPrefetchIter=0 */
/* dataAtIterA=5 numReadsIterA=7 skipReadsIterA=1 readsPerIterA=5 */
/* dataAtIterB=5 numReadsIterB=7 skipReadsIterB=1 readsPerIterB=1 */


/* closeLoop loopL finalLoop=0 tailLoop=1 */
s_sub_i32 s[sgprLoopCounterL], s[sgprLoopCounterL], 0x4 // dec counterL (tailLoop)
s_add_u32 s[sgprOrigLoopCounter], s[sgprOrigLoopCounter], 0x4 // inc counterL
s_cmp_le_i32 s[sgprLoopCounterL], 0x0              // counterL<=0
s_cbranch_scc1 TailLoopEndL_oddexit_37             // exit LoopL


/* iter 7 (last unrolled loop) */

s_waitcnt vmcnt(0)                                 // lgkmcnt=-1 vmcnt=0global read wait for DirectToVgpr

/*  grEndMfmaIndex:0, lwStartMfmaIndex:139, lwEndMfmaIndex:139  */
/*  numMfmaForLR:10, barrierMfmaIndex:149, LocalWritePerMfma:1.060 */
/*  mfmaIndex:140  */
s_waitcnt lgkmcnt(0)                               // lgkmcnt=0 vmcnt=-1wait for prior local read local write old=0, new=0 newLW=0 newLR=0
v_add_f64 v[246:247], -v[vgprValuA_X1_I0+0+0+0+2:vgprValuA_X1_I0+0+0+0+2+1], 0 // Ai=-Ai
v_mfma_f64_16x16x4_f64 v[0+0:7+0], v[vgprG2LB+28+0:vgprG2LB+28+0+1], v[vgprValuA_X1_I0+0+0+0:vgprValuA_X1_I0+0+0+0+1], v[0:7]
 // Cr += Ar*Br
/*  mfmaIndex:141  */
v_mfma_f64_16x16x4_f64 v[40+0:47+0], v[vgprG2LB+28+0:vgprG2LB+28+0+1], v[vgprValuA_X1_I0+0+0+0+2:vgprValuA_X1_I0+0+0+0+2+1], v[40:47]
 // Ci += Ai*Br
/*  mfmaIndex:142  */
v_mfma_f64_16x16x4_f64 v[0+0:7+0], v[vgprG2LB+28+0+2:vgprG2LB+28+0+2+1], v[246:247], v[0:7]
 // Cr += -Ai*Bi
/*  mfmaIndex:143  */
v_mfma_f64_16x16x4_f64 v[40+0:47+0], v[vgprG2LB+28+0+2:vgprG2LB+28+0+2+1], v[vgprValuA_X1_I0+0+0+0:vgprValuA_X1_I0+0+0+0+1], v[40:47]
 // Ci += Ar*Bi
/*  mfmaIndex:144  */
v_add_f64 v[246:247], -v[vgprValuA_X1_I0+4+0+0+2:vgprValuA_X1_I0+4+0+0+2+1], 0 // Ai=-Ai
v_mfma_f64_16x16x4_f64 v[8+0:15+0], v[vgprG2LB+28+0:vgprG2LB+28+0+1], v[vgprValuA_X1_I0+4+0+0:vgprValuA_X1_I0+4+0+0+1], v[8:15]
 // Cr += Ar*Br
/*  mfmaIndex:145  */
v_mfma_f64_16x16x4_f64 v[48+0:55+0], v[vgprG2LB+28+0:vgprG2LB+28+0+1], v[vgprValuA_X1_I0+4+0+0+2:vgprValuA_X1_I0+4+0+0+2+1], v[48:55]
 // Ci += Ai*Br
/*  mfmaIndex:146  */
v_mfma_f64_16x16x4_f64 v[8+0:15+0], v[vgprG2LB+28+0+2:vgprG2LB+28+0+2+1], v[246:247], v[8:15]
 // Cr += -Ai*Bi
/*  mfmaIndex:147  */
v_mfma_f64_16x16x4_f64 v[48+0:55+0], v[vgprG2LB+28+0+2:vgprG2LB+28+0+2+1], v[vgprValuA_X1_I0+4+0+0:vgprValuA_X1_I0+4+0+0+1], v[48:55]
 // Ci += Ar*Bi
/*  mfmaIndex:148  */
	;; [unrolled: 13-line block ×4, first 2 shown]
v_add_f64 v[246:247], -v[vgprValuA_X1_I0+16+0+0+2:vgprValuA_X1_I0+16+0+0+2+1], 0 // Ai=-Ai
v_mfma_f64_16x16x4_f64 v[32+0:39+0], v[vgprG2LB+28+0:vgprG2LB+28+0+1], v[vgprValuA_X1_I0+16+0+0:vgprValuA_X1_I0+16+0+0+1], v[32:39]
 // Cr += Ar*Br
/*  mfmaIndex:157  */
v_mfma_f64_16x16x4_f64 v[72+0:79+0], v[vgprG2LB+28+0:vgprG2LB+28+0+1], v[vgprValuA_X1_I0+16+0+0+2:vgprValuA_X1_I0+16+0+0+2+1], v[72:79]
 // Ci += Ai*Br
/*  mfmaIndex:158  */
v_mfma_f64_16x16x4_f64 v[32+0:39+0], v[vgprG2LB+28+0+2:vgprG2LB+28+0+2+1], v[246:247], v[32:39]
 // Cr += -Ai*Bi
/*  mfmaIndex:159  */
v_mfma_f64_16x16x4_f64 v[72+0:79+0], v[vgprG2LB+28+0+2:vgprG2LB+28+0+2+1], v[vgprValuA_X1_I0+16+0+0:vgprValuA_X1_I0+16+0+0+1], v[72:79]
 // Ci += Ar*Bi
/* numPrefetchIter=0 */
/* dataAtIterA=6 numReadsIterA=7 skipReadsIterA=0 readsPerIterA=5 */
/* dataAtIterB=6 numReadsIterB=7 skipReadsIterB=0 readsPerIterB=1 */

TailLoopEndL_oddexit_37:

s_branch label_0039                                // Skip even code
label_0036: // EvenStartNoLoadLoopOrd 


	;; [unrolled: 1-line block ×3, first 2 shown]
/* iter 0 (last unrolled loop) */

s_waitcnt vmcnt(7)                                 // lgkmcnt=-1 vmcnt=7global read wait for DirectToVgpr

/*  grEndMfmaIndex:0, lwStartMfmaIndex:139, lwEndMfmaIndex:139  */
/*  numMfmaForLR:10, barrierMfmaIndex:149, LocalWritePerMfma:1.060 */
/*  mfmaIndex:0  */
s_waitcnt lgkmcnt(0)                               // lgkmcnt=0 vmcnt=-1wait for prior local read local write old=0, new=0 newLW=0 newLR=0
v_add_f64 v[246:247], -v[vgprValuA_X0_I0+0+0+0+2:vgprValuA_X0_I0+0+0+0+2+1], 0 // Ai=-Ai
v_mfma_f64_16x16x4_f64 v[0+0:7+0], v[vgprG2LB+32+0:vgprG2LB+32+0+1], v[vgprValuA_X0_I0+0+0+0:vgprValuA_X0_I0+0+0+0+1], v[0:7]
 // Cr += Ar*Br
/*  mfmaIndex:1  */
_ds_load_b128 v[vgprValuA_X1_I0+0:vgprValuA_X1_I0+0+3], v[vgprLocalReadAddrA] offset:5120 // L -> Reg lro=320 swapByteOffset=0 ti=16 vIdx=0 rIdx=0 oIdx=0 buffer=1 iui=0
v_mfma_f64_16x16x4_f64 v[40+0:47+0], v[vgprG2LB+32+0:vgprG2LB+32+0+1], v[vgprValuA_X0_I0+0+0+0+2:vgprValuA_X0_I0+0+0+0+2+1], v[40:47]
 // Ci += Ai*Br
/*  mfmaIndex:2  */
_ds_load_b128 v[vgprValuA_X1_I0+4:vgprValuA_X1_I0+4+3], v[vgprLocalReadAddrA] offset:5376 // L -> Reg lro=320 swapByteOffset=0 ti=16 vIdx=1 rIdx=0 oIdx=0 buffer=1 iui=0
v_mfma_f64_16x16x4_f64 v[0+0:7+0], v[vgprG2LB+32+0+2:vgprG2LB+32+0+2+1], v[246:247], v[0:7]
 // Cr += -Ai*Bi
/*  mfmaIndex:3  */
_ds_load_b128 v[vgprValuA_X1_I0+8:vgprValuA_X1_I0+8+3], v[vgprLocalReadAddrA] offset:5632 // L -> Reg lro=320 swapByteOffset=0 ti=16 vIdx=2 rIdx=0 oIdx=0 buffer=1 iui=0
v_mfma_f64_16x16x4_f64 v[40+0:47+0], v[vgprG2LB+32+0+2:vgprG2LB+32+0+2+1], v[vgprValuA_X0_I0+0+0+0:vgprValuA_X0_I0+0+0+0+1], v[40:47]
 // Ci += Ar*Bi
/*  mfmaIndex:4  */
_ds_load_b128 v[vgprValuA_X1_I0+12:vgprValuA_X1_I0+12+3], v[vgprLocalReadAddrA] offset:5888 // L -> Reg lro=320 swapByteOffset=0 ti=16 vIdx=3 rIdx=0 oIdx=0 buffer=1 iui=0
v_add_f64 v[246:247], -v[vgprValuA_X0_I0+4+0+0+2:vgprValuA_X0_I0+4+0+0+2+1], 0 // Ai=-Ai
v_mfma_f64_16x16x4_f64 v[8+0:15+0], v[vgprG2LB+32+0:vgprG2LB+32+0+1], v[vgprValuA_X0_I0+4+0+0:vgprValuA_X0_I0+4+0+0+1], v[8:15]
 // Cr += Ar*Br
/*  mfmaIndex:5  */
_ds_load_b128 v[vgprValuA_X1_I0+16:vgprValuA_X1_I0+16+3], v[vgprLocalReadAddrA] offset:6144 // L -> Reg lro=320 swapByteOffset=0 ti=16 vIdx=4 rIdx=0 oIdx=0 buffer=1 iui=0
/* localReadsVacancy: latencyLeft 1 */
v_mfma_f64_16x16x4_f64 v[48+0:55+0], v[vgprG2LB+32+0:vgprG2LB+32+0+1], v[vgprValuA_X0_I0+4+0+0+2:vgprValuA_X0_I0+4+0+0+2+1], v[48:55]
 // Ci += Ai*Br
/*  mfmaIndex:6  */
/* localReadsVacancy: latencyLeft 5 */
v_mfma_f64_16x16x4_f64 v[8+0:15+0], v[vgprG2LB+32+0+2:vgprG2LB+32+0+2+1], v[246:247], v[8:15]
 // Cr += -Ai*Bi
/*  mfmaIndex:7  */
/* localReadsVacancy: latencyLeft 5 */
v_mfma_f64_16x16x4_f64 v[48+0:55+0], v[vgprG2LB+32+0+2:vgprG2LB+32+0+2+1], v[vgprValuA_X0_I0+4+0+0:vgprValuA_X0_I0+4+0+0+1], v[48:55]
 // Ci += Ar*Bi
/*  mfmaIndex:8  */
/* localReadsVacancy: latencyLeft 5 */
v_add_f64 v[246:247], -v[vgprValuA_X0_I0+8+0+0+2:vgprValuA_X0_I0+8+0+0+2+1], 0 // Ai=-Ai
v_mfma_f64_16x16x4_f64 v[16+0:23+0], v[vgprG2LB+32+0:vgprG2LB+32+0+1], v[vgprValuA_X0_I0+8+0+0:vgprValuA_X0_I0+8+0+0+1], v[16:23]
 // Cr += Ar*Br
/*  mfmaIndex:9  */
/* localReadsVacancy: latencyLeft 5 */
v_mfma_f64_16x16x4_f64 v[56+0:63+0], v[vgprG2LB+32+0:vgprG2LB+32+0+1], v[vgprValuA_X0_I0+8+0+0+2:vgprValuA_X0_I0+8+0+0+2+1], v[56:63]
 // Ci += Ai*Br
/*  mfmaIndex:10  */
/* localReadsVacancy: latencyLeft 5 */
v_mfma_f64_16x16x4_f64 v[16+0:23+0], v[vgprG2LB+32+0+2:vgprG2LB+32+0+2+1], v[246:247], v[16:23]
 // Cr += -Ai*Bi
/*  mfmaIndex:11  */
/* localReadsVacancy: latencyLeft 5 */
v_mfma_f64_16x16x4_f64 v[56+0:63+0], v[vgprG2LB+32+0+2:vgprG2LB+32+0+2+1], v[vgprValuA_X0_I0+8+0+0:vgprValuA_X0_I0+8+0+0+1], v[56:63]
 // Ci += Ar*Bi
/*  mfmaIndex:12  */
/* localReadsVacancy: latencyLeft 5 */
v_add_f64 v[246:247], -v[vgprValuA_X0_I0+12+0+0+2:vgprValuA_X0_I0+12+0+0+2+1], 0 // Ai=-Ai
v_mfma_f64_16x16x4_f64 v[24+0:31+0], v[vgprG2LB+32+0:vgprG2LB+32+0+1], v[vgprValuA_X0_I0+12+0+0:vgprValuA_X0_I0+12+0+0+1], v[24:31]
 // Cr += Ar*Br
/*  mfmaIndex:13  */
	;; [unrolled: 17-line block ×3, first 2 shown]
/* localReadsVacancy: latencyLeft 5 */
v_mfma_f64_16x16x4_f64 v[72+0:79+0], v[vgprG2LB+32+0:vgprG2LB+32+0+1], v[vgprValuA_X0_I0+16+0+0+2:vgprValuA_X0_I0+16+0+0+2+1], v[72:79]
 // Ci += Ai*Br
/*  mfmaIndex:18  */
/* localReadsVacancy: latencyLeft 5 */
v_mfma_f64_16x16x4_f64 v[32+0:39+0], v[vgprG2LB+32+0+2:vgprG2LB+32+0+2+1], v[246:247], v[32:39]
 // Cr += -Ai*Bi
/*  mfmaIndex:19  */
/* localReadsVacancy: latencyLeft 5 */
v_mfma_f64_16x16x4_f64 v[72+0:79+0], v[vgprG2LB+32+0+2:vgprG2LB+32+0+2+1], v[vgprValuA_X0_I0+16+0+0:vgprValuA_X0_I0+16+0+0+1], v[72:79]
 // Ci += Ar*Bi
/* numPrefetchIter=0 */
/* dataAtIterA=-1 numReadsIterA=1 skipReadsIterA=1 readsPerIterA=5 */
/* dataAtIterB=-1 numReadsIterB=1 skipReadsIterB=1 readsPerIterB=1 */


/* closeLoop loopL finalLoop=0 tailLoop=1 */
s_sub_i32 s[sgprLoopCounterL], s[sgprLoopCounterL], 0x4 // dec counterL (tailLoop)
s_add_u32 s[sgprOrigLoopCounter], s[sgprOrigLoopCounter], 0x4 // inc counterL
s_cmp_le_i32 s[sgprLoopCounterL], 0x0              // counterL<=0
s_cbranch_scc1 TailLoopEndL_7                      // exit LoopL


/* iter 1 (last unrolled loop) */

s_waitcnt vmcnt(6)                                 // lgkmcnt=-1 vmcnt=6global read wait for DirectToVgpr

/*  grEndMfmaIndex:0, lwStartMfmaIndex:139, lwEndMfmaIndex:139  */
/*  numMfmaForLR:10, barrierMfmaIndex:149, LocalWritePerMfma:1.060 */
/*  mfmaIndex:20  */
_ds_load_b128 v[vgprValuA_X0_I0+0:vgprValuA_X0_I0+0+3], v[vgprLocalReadAddrA] offset:10240 // L -> Reg lro=640 swapByteOffset=0 ti=16 vIdx=0 rIdx=0 oIdx=0 buffer=0 iui=0
s_waitcnt lgkmcnt(1)                               // lgkmcnt=0 vmcnt=-1wait for prior local read local write old=0, new=1 newLW=0 newLR=1
v_add_f64 v[246:247], -v[vgprValuA_X1_I0+0+0+0+2:vgprValuA_X1_I0+0+0+0+2+1], 0 // Ai=-Ai
v_mfma_f64_16x16x4_f64 v[0+0:7+0], v[vgprG2LB+36+0:vgprG2LB+36+0+1], v[vgprValuA_X1_I0+0+0+0:vgprValuA_X1_I0+0+0+0+1], v[0:7]
 // Cr += Ar*Br
/*  mfmaIndex:21  */
_ds_load_b128 v[vgprValuA_X0_I0+4:vgprValuA_X0_I0+4+3], v[vgprLocalReadAddrA] offset:10496 // L -> Reg lro=640 swapByteOffset=0 ti=16 vIdx=1 rIdx=0 oIdx=0 buffer=0 iui=0
v_mfma_f64_16x16x4_f64 v[40+0:47+0], v[vgprG2LB+36+0:vgprG2LB+36+0+1], v[vgprValuA_X1_I0+0+0+0+2:vgprValuA_X1_I0+0+0+0+2+1], v[40:47]
 // Ci += Ai*Br
/*  mfmaIndex:22  */
_ds_load_b128 v[vgprValuA_X0_I0+8:vgprValuA_X0_I0+8+3], v[vgprLocalReadAddrA] offset:10752 // L -> Reg lro=640 swapByteOffset=0 ti=16 vIdx=2 rIdx=0 oIdx=0 buffer=0 iui=0
v_mfma_f64_16x16x4_f64 v[0+0:7+0], v[vgprG2LB+36+0+2:vgprG2LB+36+0+2+1], v[246:247], v[0:7]
 // Cr += -Ai*Bi
/*  mfmaIndex:23  */
_ds_load_b128 v[vgprValuA_X0_I0+12:vgprValuA_X0_I0+12+3], v[vgprLocalReadAddrA] offset:11008 // L -> Reg lro=640 swapByteOffset=0 ti=16 vIdx=3 rIdx=0 oIdx=0 buffer=0 iui=0
v_mfma_f64_16x16x4_f64 v[40+0:47+0], v[vgprG2LB+36+0+2:vgprG2LB+36+0+2+1], v[vgprValuA_X1_I0+0+0+0:vgprValuA_X1_I0+0+0+0+1], v[40:47]
 // Ci += Ar*Bi
/*  mfmaIndex:24  */
_ds_load_b128 v[vgprValuA_X0_I0+16:vgprValuA_X0_I0+16+3], v[vgprLocalReadAddrA] offset:11264 // L -> Reg lro=640 swapByteOffset=0 ti=16 vIdx=4 rIdx=0 oIdx=0 buffer=0 iui=0
/* localReadsVacancy: latencyLeft 1 */
v_add_f64 v[246:247], -v[vgprValuA_X1_I0+4+0+0+2:vgprValuA_X1_I0+4+0+0+2+1], 0 // Ai=-Ai
v_mfma_f64_16x16x4_f64 v[8+0:15+0], v[vgprG2LB+36+0:vgprG2LB+36+0+1], v[vgprValuA_X1_I0+4+0+0:vgprValuA_X1_I0+4+0+0+1], v[8:15]
 // Cr += Ar*Br
/*  mfmaIndex:25  */
/* localReadsVacancy: latencyLeft 5 */
v_mfma_f64_16x16x4_f64 v[48+0:55+0], v[vgprG2LB+36+0:vgprG2LB+36+0+1], v[vgprValuA_X1_I0+4+0+0+2:vgprValuA_X1_I0+4+0+0+2+1], v[48:55]
 // Ci += Ai*Br
/*  mfmaIndex:26  */
/* localReadsVacancy: latencyLeft 5 */
v_mfma_f64_16x16x4_f64 v[8+0:15+0], v[vgprG2LB+36+0+2:vgprG2LB+36+0+2+1], v[246:247], v[8:15]
 // Cr += -Ai*Bi
/*  mfmaIndex:27  */
/* localReadsVacancy: latencyLeft 5 */
v_mfma_f64_16x16x4_f64 v[48+0:55+0], v[vgprG2LB+36+0+2:vgprG2LB+36+0+2+1], v[vgprValuA_X1_I0+4+0+0:vgprValuA_X1_I0+4+0+0+1], v[48:55]
 // Ci += Ar*Bi
/*  mfmaIndex:28  */
/* localReadsVacancy: latencyLeft 5 */
v_add_f64 v[246:247], -v[vgprValuA_X1_I0+8+0+0+2:vgprValuA_X1_I0+8+0+0+2+1], 0 // Ai=-Ai
v_mfma_f64_16x16x4_f64 v[16+0:23+0], v[vgprG2LB+36+0:vgprG2LB+36+0+1], v[vgprValuA_X1_I0+8+0+0:vgprValuA_X1_I0+8+0+0+1], v[16:23]
 // Cr += Ar*Br
/*  mfmaIndex:29  */
/* localReadsVacancy: latencyLeft 5 */
v_mfma_f64_16x16x4_f64 v[56+0:63+0], v[vgprG2LB+36+0:vgprG2LB+36+0+1], v[vgprValuA_X1_I0+8+0+0+2:vgprValuA_X1_I0+8+0+0+2+1], v[56:63]
 // Ci += Ai*Br
/*  mfmaIndex:30  */
/* localReadsVacancy: latencyLeft 5 */
v_mfma_f64_16x16x4_f64 v[16+0:23+0], v[vgprG2LB+36+0+2:vgprG2LB+36+0+2+1], v[246:247], v[16:23]
 // Cr += -Ai*Bi
/*  mfmaIndex:31  */
/* localReadsVacancy: latencyLeft 5 */
v_mfma_f64_16x16x4_f64 v[56+0:63+0], v[vgprG2LB+36+0+2:vgprG2LB+36+0+2+1], v[vgprValuA_X1_I0+8+0+0:vgprValuA_X1_I0+8+0+0+1], v[56:63]
 // Ci += Ar*Bi
/*  mfmaIndex:32  */
	;; [unrolled: 17-line block ×3, first 2 shown]
/* localReadsVacancy: latencyLeft 5 */
v_add_f64 v[246:247], -v[vgprValuA_X1_I0+16+0+0+2:vgprValuA_X1_I0+16+0+0+2+1], 0 // Ai=-Ai
v_mfma_f64_16x16x4_f64 v[32+0:39+0], v[vgprG2LB+36+0:vgprG2LB+36+0+1], v[vgprValuA_X1_I0+16+0+0:vgprValuA_X1_I0+16+0+0+1], v[32:39]
 // Cr += Ar*Br
/*  mfmaIndex:37  */
/* localReadsVacancy: latencyLeft 5 */
v_mfma_f64_16x16x4_f64 v[72+0:79+0], v[vgprG2LB+36+0:vgprG2LB+36+0+1], v[vgprValuA_X1_I0+16+0+0+2:vgprValuA_X1_I0+16+0+0+2+1], v[72:79]
 // Ci += Ai*Br
/*  mfmaIndex:38  */
/* localReadsVacancy: latencyLeft 5 */
v_mfma_f64_16x16x4_f64 v[32+0:39+0], v[vgprG2LB+36+0+2:vgprG2LB+36+0+2+1], v[246:247], v[32:39]
 // Cr += -Ai*Bi
/*  mfmaIndex:39  */
/* localReadsVacancy: latencyLeft 5 */
v_mfma_f64_16x16x4_f64 v[72+0:79+0], v[vgprG2LB+36+0+2:vgprG2LB+36+0+2+1], v[vgprValuA_X1_I0+16+0+0:vgprValuA_X1_I0+16+0+0+1], v[72:79]
 // Ci += Ar*Bi
/* numPrefetchIter=0 */
/* dataAtIterA=0 numReadsIterA=2 skipReadsIterA=1 readsPerIterA=5 */
/* dataAtIterB=0 numReadsIterB=2 skipReadsIterB=1 readsPerIterB=1 */


/* closeLoop loopL finalLoop=0 tailLoop=1 */
s_sub_i32 s[sgprLoopCounterL], s[sgprLoopCounterL], 0x4 // dec counterL (tailLoop)
s_add_u32 s[sgprOrigLoopCounter], s[sgprOrigLoopCounter], 0x4 // inc counterL
s_cmp_le_i32 s[sgprLoopCounterL], 0x0              // counterL<=0
s_cbranch_scc1 TailLoopEndL_7                      // exit LoopL


/* iter 2 (last unrolled loop) */

s_waitcnt vmcnt(5)                                 // lgkmcnt=-1 vmcnt=5global read wait for DirectToVgpr

/*  grEndMfmaIndex:0, lwStartMfmaIndex:139, lwEndMfmaIndex:139  */
/*  numMfmaForLR:10, barrierMfmaIndex:149, LocalWritePerMfma:1.060 */
/*  mfmaIndex:40  */
_ds_load_b128 v[vgprValuA_X1_I0+0:vgprValuA_X1_I0+0+3], v[vgprLocalReadAddrA] offset:15360 // L -> Reg lro=960 swapByteOffset=0 ti=16 vIdx=0 rIdx=0 oIdx=0 buffer=1 iui=0
s_waitcnt lgkmcnt(1)                               // lgkmcnt=0 vmcnt=-1wait for prior local read local write old=0, new=1 newLW=0 newLR=1
v_add_f64 v[246:247], -v[vgprValuA_X0_I0+0+0+0+2:vgprValuA_X0_I0+0+0+0+2+1], 0 // Ai=-Ai
v_mfma_f64_16x16x4_f64 v[0+0:7+0], v[vgprG2LB+40+0:vgprG2LB+40+0+1], v[vgprValuA_X0_I0+0+0+0:vgprValuA_X0_I0+0+0+0+1], v[0:7]
 // Cr += Ar*Br
/*  mfmaIndex:41  */
_ds_load_b128 v[vgprValuA_X1_I0+4:vgprValuA_X1_I0+4+3], v[vgprLocalReadAddrA] offset:15616 // L -> Reg lro=960 swapByteOffset=0 ti=16 vIdx=1 rIdx=0 oIdx=0 buffer=1 iui=0
v_mfma_f64_16x16x4_f64 v[40+0:47+0], v[vgprG2LB+40+0:vgprG2LB+40+0+1], v[vgprValuA_X0_I0+0+0+0+2:vgprValuA_X0_I0+0+0+0+2+1], v[40:47]
 // Ci += Ai*Br
/*  mfmaIndex:42  */
_ds_load_b128 v[vgprValuA_X1_I0+8:vgprValuA_X1_I0+8+3], v[vgprLocalReadAddrA] offset:15872 // L -> Reg lro=960 swapByteOffset=0 ti=16 vIdx=2 rIdx=0 oIdx=0 buffer=1 iui=0
v_mfma_f64_16x16x4_f64 v[0+0:7+0], v[vgprG2LB+40+0+2:vgprG2LB+40+0+2+1], v[246:247], v[0:7]
 // Cr += -Ai*Bi
/*  mfmaIndex:43  */
_ds_load_b128 v[vgprValuA_X1_I0+12:vgprValuA_X1_I0+12+3], v[vgprLocalReadAddrA] offset:16128 // L -> Reg lro=960 swapByteOffset=0 ti=16 vIdx=3 rIdx=0 oIdx=0 buffer=1 iui=0
v_mfma_f64_16x16x4_f64 v[40+0:47+0], v[vgprG2LB+40+0+2:vgprG2LB+40+0+2+1], v[vgprValuA_X0_I0+0+0+0:vgprValuA_X0_I0+0+0+0+1], v[40:47]
 // Ci += Ar*Bi
/*  mfmaIndex:44  */
_ds_load_b128 v[vgprValuA_X1_I0+16:vgprValuA_X1_I0+16+3], v[vgprLocalReadAddrA] offset:16384 // L -> Reg lro=960 swapByteOffset=0 ti=16 vIdx=4 rIdx=0 oIdx=0 buffer=1 iui=0
/* localReadsVacancy: latencyLeft 1 */
v_add_f64 v[246:247], -v[vgprValuA_X0_I0+4+0+0+2:vgprValuA_X0_I0+4+0+0+2+1], 0 // Ai=-Ai
v_mfma_f64_16x16x4_f64 v[8+0:15+0], v[vgprG2LB+40+0:vgprG2LB+40+0+1], v[vgprValuA_X0_I0+4+0+0:vgprValuA_X0_I0+4+0+0+1], v[8:15]
 // Cr += Ar*Br
/*  mfmaIndex:45  */
/* localReadsVacancy: latencyLeft 5 */
v_mfma_f64_16x16x4_f64 v[48+0:55+0], v[vgprG2LB+40+0:vgprG2LB+40+0+1], v[vgprValuA_X0_I0+4+0+0+2:vgprValuA_X0_I0+4+0+0+2+1], v[48:55]
 // Ci += Ai*Br
/*  mfmaIndex:46  */
/* localReadsVacancy: latencyLeft 5 */
v_mfma_f64_16x16x4_f64 v[8+0:15+0], v[vgprG2LB+40+0+2:vgprG2LB+40+0+2+1], v[246:247], v[8:15]
 // Cr += -Ai*Bi
/*  mfmaIndex:47  */
/* localReadsVacancy: latencyLeft 5 */
v_mfma_f64_16x16x4_f64 v[48+0:55+0], v[vgprG2LB+40+0+2:vgprG2LB+40+0+2+1], v[vgprValuA_X0_I0+4+0+0:vgprValuA_X0_I0+4+0+0+1], v[48:55]
 // Ci += Ar*Bi
/*  mfmaIndex:48  */
/* localReadsVacancy: latencyLeft 5 */
v_add_f64 v[246:247], -v[vgprValuA_X0_I0+8+0+0+2:vgprValuA_X0_I0+8+0+0+2+1], 0 // Ai=-Ai
v_mfma_f64_16x16x4_f64 v[16+0:23+0], v[vgprG2LB+40+0:vgprG2LB+40+0+1], v[vgprValuA_X0_I0+8+0+0:vgprValuA_X0_I0+8+0+0+1], v[16:23]
 // Cr += Ar*Br
/*  mfmaIndex:49  */
/* localReadsVacancy: latencyLeft 5 */
v_mfma_f64_16x16x4_f64 v[56+0:63+0], v[vgprG2LB+40+0:vgprG2LB+40+0+1], v[vgprValuA_X0_I0+8+0+0+2:vgprValuA_X0_I0+8+0+0+2+1], v[56:63]
 // Ci += Ai*Br
/*  mfmaIndex:50  */
/* localReadsVacancy: latencyLeft 5 */
v_mfma_f64_16x16x4_f64 v[16+0:23+0], v[vgprG2LB+40+0+2:vgprG2LB+40+0+2+1], v[246:247], v[16:23]
 // Cr += -Ai*Bi
/*  mfmaIndex:51  */
/* localReadsVacancy: latencyLeft 5 */
v_mfma_f64_16x16x4_f64 v[56+0:63+0], v[vgprG2LB+40+0+2:vgprG2LB+40+0+2+1], v[vgprValuA_X0_I0+8+0+0:vgprValuA_X0_I0+8+0+0+1], v[56:63]
 // Ci += Ar*Bi
/*  mfmaIndex:52  */
	;; [unrolled: 17-line block ×3, first 2 shown]
/* localReadsVacancy: latencyLeft 5 */
v_add_f64 v[246:247], -v[vgprValuA_X0_I0+16+0+0+2:vgprValuA_X0_I0+16+0+0+2+1], 0 // Ai=-Ai
v_mfma_f64_16x16x4_f64 v[32+0:39+0], v[vgprG2LB+40+0:vgprG2LB+40+0+1], v[vgprValuA_X0_I0+16+0+0:vgprValuA_X0_I0+16+0+0+1], v[32:39]
 // Cr += Ar*Br
/*  mfmaIndex:57  */
/* localReadsVacancy: latencyLeft 5 */
v_mfma_f64_16x16x4_f64 v[72+0:79+0], v[vgprG2LB+40+0:vgprG2LB+40+0+1], v[vgprValuA_X0_I0+16+0+0+2:vgprValuA_X0_I0+16+0+0+2+1], v[72:79]
 // Ci += Ai*Br
/*  mfmaIndex:58  */
/* localReadsVacancy: latencyLeft 5 */
v_mfma_f64_16x16x4_f64 v[32+0:39+0], v[vgprG2LB+40+0+2:vgprG2LB+40+0+2+1], v[246:247], v[32:39]
 // Cr += -Ai*Bi
/*  mfmaIndex:59  */
/* localReadsVacancy: latencyLeft 5 */
v_mfma_f64_16x16x4_f64 v[72+0:79+0], v[vgprG2LB+40+0+2:vgprG2LB+40+0+2+1], v[vgprValuA_X0_I0+16+0+0:vgprValuA_X0_I0+16+0+0+1], v[72:79]
 // Ci += Ar*Bi
/* numPrefetchIter=0 */
/* dataAtIterA=1 numReadsIterA=3 skipReadsIterA=1 readsPerIterA=5 */
/* dataAtIterB=1 numReadsIterB=3 skipReadsIterB=1 readsPerIterB=1 */


/* closeLoop loopL finalLoop=0 tailLoop=1 */
s_sub_i32 s[sgprLoopCounterL], s[sgprLoopCounterL], 0x4 // dec counterL (tailLoop)
s_add_u32 s[sgprOrigLoopCounter], s[sgprOrigLoopCounter], 0x4 // inc counterL
s_cmp_le_i32 s[sgprLoopCounterL], 0x0              // counterL<=0
s_cbranch_scc1 TailLoopEndL_7                      // exit LoopL


/* iter 3 (last unrolled loop) */

s_waitcnt vmcnt(4)                                 // lgkmcnt=-1 vmcnt=4global read wait for DirectToVgpr

/*  grEndMfmaIndex:0, lwStartMfmaIndex:139, lwEndMfmaIndex:139  */
/*  numMfmaForLR:10, barrierMfmaIndex:149, LocalWritePerMfma:1.060 */
/*  mfmaIndex:60  */
_ds_load_b128 v[vgprValuA_X0_I0+0:vgprValuA_X0_I0+0+3], v[vgprLocalReadAddrA] offset:20480 // L -> Reg lro=1280 swapByteOffset=0 ti=16 vIdx=0 rIdx=0 oIdx=0 buffer=0 iui=0
s_waitcnt lgkmcnt(1)                               // lgkmcnt=0 vmcnt=-1wait for prior local read local write old=0, new=1 newLW=0 newLR=1
v_add_f64 v[246:247], -v[vgprValuA_X1_I0+0+0+0+2:vgprValuA_X1_I0+0+0+0+2+1], 0 // Ai=-Ai
v_mfma_f64_16x16x4_f64 v[0+0:7+0], v[vgprG2LB+44+0:vgprG2LB+44+0+1], v[vgprValuA_X1_I0+0+0+0:vgprValuA_X1_I0+0+0+0+1], v[0:7]
 // Cr += Ar*Br
/*  mfmaIndex:61  */
_ds_load_b128 v[vgprValuA_X0_I0+4:vgprValuA_X0_I0+4+3], v[vgprLocalReadAddrA] offset:20736 // L -> Reg lro=1280 swapByteOffset=0 ti=16 vIdx=1 rIdx=0 oIdx=0 buffer=0 iui=0
v_mfma_f64_16x16x4_f64 v[40+0:47+0], v[vgprG2LB+44+0:vgprG2LB+44+0+1], v[vgprValuA_X1_I0+0+0+0+2:vgprValuA_X1_I0+0+0+0+2+1], v[40:47]
 // Ci += Ai*Br
/*  mfmaIndex:62  */
_ds_load_b128 v[vgprValuA_X0_I0+8:vgprValuA_X0_I0+8+3], v[vgprLocalReadAddrA] offset:20992 // L -> Reg lro=1280 swapByteOffset=0 ti=16 vIdx=2 rIdx=0 oIdx=0 buffer=0 iui=0
v_mfma_f64_16x16x4_f64 v[0+0:7+0], v[vgprG2LB+44+0+2:vgprG2LB+44+0+2+1], v[246:247], v[0:7]
 // Cr += -Ai*Bi
/*  mfmaIndex:63  */
_ds_load_b128 v[vgprValuA_X0_I0+12:vgprValuA_X0_I0+12+3], v[vgprLocalReadAddrA] offset:21248 // L -> Reg lro=1280 swapByteOffset=0 ti=16 vIdx=3 rIdx=0 oIdx=0 buffer=0 iui=0
v_mfma_f64_16x16x4_f64 v[40+0:47+0], v[vgprG2LB+44+0+2:vgprG2LB+44+0+2+1], v[vgprValuA_X1_I0+0+0+0:vgprValuA_X1_I0+0+0+0+1], v[40:47]
 // Ci += Ar*Bi
/*  mfmaIndex:64  */
_ds_load_b128 v[vgprValuA_X0_I0+16:vgprValuA_X0_I0+16+3], v[vgprLocalReadAddrA] offset:21504 // L -> Reg lro=1280 swapByteOffset=0 ti=16 vIdx=4 rIdx=0 oIdx=0 buffer=0 iui=0
/* localReadsVacancy: latencyLeft 1 */
v_add_f64 v[246:247], -v[vgprValuA_X1_I0+4+0+0+2:vgprValuA_X1_I0+4+0+0+2+1], 0 // Ai=-Ai
v_mfma_f64_16x16x4_f64 v[8+0:15+0], v[vgprG2LB+44+0:vgprG2LB+44+0+1], v[vgprValuA_X1_I0+4+0+0:vgprValuA_X1_I0+4+0+0+1], v[8:15]
 // Cr += Ar*Br
/*  mfmaIndex:65  */
/* localReadsVacancy: latencyLeft 5 */
v_mfma_f64_16x16x4_f64 v[48+0:55+0], v[vgprG2LB+44+0:vgprG2LB+44+0+1], v[vgprValuA_X1_I0+4+0+0+2:vgprValuA_X1_I0+4+0+0+2+1], v[48:55]
 // Ci += Ai*Br
/*  mfmaIndex:66  */
/* localReadsVacancy: latencyLeft 5 */
v_mfma_f64_16x16x4_f64 v[8+0:15+0], v[vgprG2LB+44+0+2:vgprG2LB+44+0+2+1], v[246:247], v[8:15]
 // Cr += -Ai*Bi
/*  mfmaIndex:67  */
/* localReadsVacancy: latencyLeft 5 */
v_mfma_f64_16x16x4_f64 v[48+0:55+0], v[vgprG2LB+44+0+2:vgprG2LB+44+0+2+1], v[vgprValuA_X1_I0+4+0+0:vgprValuA_X1_I0+4+0+0+1], v[48:55]
 // Ci += Ar*Bi
/*  mfmaIndex:68  */
/* localReadsVacancy: latencyLeft 5 */
v_add_f64 v[246:247], -v[vgprValuA_X1_I0+8+0+0+2:vgprValuA_X1_I0+8+0+0+2+1], 0 // Ai=-Ai
v_mfma_f64_16x16x4_f64 v[16+0:23+0], v[vgprG2LB+44+0:vgprG2LB+44+0+1], v[vgprValuA_X1_I0+8+0+0:vgprValuA_X1_I0+8+0+0+1], v[16:23]
 // Cr += Ar*Br
/*  mfmaIndex:69  */
/* localReadsVacancy: latencyLeft 5 */
v_mfma_f64_16x16x4_f64 v[56+0:63+0], v[vgprG2LB+44+0:vgprG2LB+44+0+1], v[vgprValuA_X1_I0+8+0+0+2:vgprValuA_X1_I0+8+0+0+2+1], v[56:63]
 // Ci += Ai*Br
/*  mfmaIndex:70  */
/* localReadsVacancy: latencyLeft 5 */
v_mfma_f64_16x16x4_f64 v[16+0:23+0], v[vgprG2LB+44+0+2:vgprG2LB+44+0+2+1], v[246:247], v[16:23]
 // Cr += -Ai*Bi
/*  mfmaIndex:71  */
/* localReadsVacancy: latencyLeft 5 */
v_mfma_f64_16x16x4_f64 v[56+0:63+0], v[vgprG2LB+44+0+2:vgprG2LB+44+0+2+1], v[vgprValuA_X1_I0+8+0+0:vgprValuA_X1_I0+8+0+0+1], v[56:63]
 // Ci += Ar*Bi
/*  mfmaIndex:72  */
	;; [unrolled: 17-line block ×3, first 2 shown]
/* localReadsVacancy: latencyLeft 5 */
v_add_f64 v[246:247], -v[vgprValuA_X1_I0+16+0+0+2:vgprValuA_X1_I0+16+0+0+2+1], 0 // Ai=-Ai
v_mfma_f64_16x16x4_f64 v[32+0:39+0], v[vgprG2LB+44+0:vgprG2LB+44+0+1], v[vgprValuA_X1_I0+16+0+0:vgprValuA_X1_I0+16+0+0+1], v[32:39]
 // Cr += Ar*Br
/*  mfmaIndex:77  */
/* localReadsVacancy: latencyLeft 5 */
v_mfma_f64_16x16x4_f64 v[72+0:79+0], v[vgprG2LB+44+0:vgprG2LB+44+0+1], v[vgprValuA_X1_I0+16+0+0+2:vgprValuA_X1_I0+16+0+0+2+1], v[72:79]
 // Ci += Ai*Br
/*  mfmaIndex:78  */
/* localReadsVacancy: latencyLeft 5 */
v_mfma_f64_16x16x4_f64 v[32+0:39+0], v[vgprG2LB+44+0+2:vgprG2LB+44+0+2+1], v[246:247], v[32:39]
 // Cr += -Ai*Bi
/*  mfmaIndex:79  */
/* localReadsVacancy: latencyLeft 5 */
v_mfma_f64_16x16x4_f64 v[72+0:79+0], v[vgprG2LB+44+0+2:vgprG2LB+44+0+2+1], v[vgprValuA_X1_I0+16+0+0:vgprValuA_X1_I0+16+0+0+1], v[72:79]
 // Ci += Ar*Bi
/* numPrefetchIter=0 */
/* dataAtIterA=2 numReadsIterA=4 skipReadsIterA=1 readsPerIterA=5 */
/* dataAtIterB=2 numReadsIterB=4 skipReadsIterB=1 readsPerIterB=1 */


/* closeLoop loopL finalLoop=0 tailLoop=1 */
s_sub_i32 s[sgprLoopCounterL], s[sgprLoopCounterL], 0x4 // dec counterL (tailLoop)
s_add_u32 s[sgprOrigLoopCounter], s[sgprOrigLoopCounter], 0x4 // inc counterL
s_cmp_le_i32 s[sgprLoopCounterL], 0x0              // counterL<=0
s_cbranch_scc1 TailLoopEndL_7                      // exit LoopL


/* iter 4 (last unrolled loop) */

s_waitcnt vmcnt(3)                                 // lgkmcnt=-1 vmcnt=3global read wait for DirectToVgpr

/*  grEndMfmaIndex:0, lwStartMfmaIndex:139, lwEndMfmaIndex:139  */
/*  numMfmaForLR:10, barrierMfmaIndex:149, LocalWritePerMfma:1.060 */
/*  mfmaIndex:80  */
_ds_load_b128 v[vgprValuA_X1_I0+0:vgprValuA_X1_I0+0+3], v[vgprLocalReadAddrA] offset:25600 // L -> Reg lro=1600 swapByteOffset=0 ti=16 vIdx=0 rIdx=0 oIdx=0 buffer=1 iui=0
s_waitcnt lgkmcnt(1)                               // lgkmcnt=0 vmcnt=-1wait for prior local read local write old=0, new=1 newLW=0 newLR=1
v_add_f64 v[246:247], -v[vgprValuA_X0_I0+0+0+0+2:vgprValuA_X0_I0+0+0+0+2+1], 0 // Ai=-Ai
v_mfma_f64_16x16x4_f64 v[0+0:7+0], v[vgprG2LB+48+0:vgprG2LB+48+0+1], v[vgprValuA_X0_I0+0+0+0:vgprValuA_X0_I0+0+0+0+1], v[0:7]
 // Cr += Ar*Br
/*  mfmaIndex:81  */
_ds_load_b128 v[vgprValuA_X1_I0+4:vgprValuA_X1_I0+4+3], v[vgprLocalReadAddrA] offset:25856 // L -> Reg lro=1600 swapByteOffset=0 ti=16 vIdx=1 rIdx=0 oIdx=0 buffer=1 iui=0
v_mfma_f64_16x16x4_f64 v[40+0:47+0], v[vgprG2LB+48+0:vgprG2LB+48+0+1], v[vgprValuA_X0_I0+0+0+0+2:vgprValuA_X0_I0+0+0+0+2+1], v[40:47]
 // Ci += Ai*Br
/*  mfmaIndex:82  */
_ds_load_b128 v[vgprValuA_X1_I0+8:vgprValuA_X1_I0+8+3], v[vgprLocalReadAddrA] offset:26112 // L -> Reg lro=1600 swapByteOffset=0 ti=16 vIdx=2 rIdx=0 oIdx=0 buffer=1 iui=0
v_mfma_f64_16x16x4_f64 v[0+0:7+0], v[vgprG2LB+48+0+2:vgprG2LB+48+0+2+1], v[246:247], v[0:7]
 // Cr += -Ai*Bi
/*  mfmaIndex:83  */
_ds_load_b128 v[vgprValuA_X1_I0+12:vgprValuA_X1_I0+12+3], v[vgprLocalReadAddrA] offset:26368 // L -> Reg lro=1600 swapByteOffset=0 ti=16 vIdx=3 rIdx=0 oIdx=0 buffer=1 iui=0
v_mfma_f64_16x16x4_f64 v[40+0:47+0], v[vgprG2LB+48+0+2:vgprG2LB+48+0+2+1], v[vgprValuA_X0_I0+0+0+0:vgprValuA_X0_I0+0+0+0+1], v[40:47]
 // Ci += Ar*Bi
/*  mfmaIndex:84  */
_ds_load_b128 v[vgprValuA_X1_I0+16:vgprValuA_X1_I0+16+3], v[vgprLocalReadAddrA] offset:26624 // L -> Reg lro=1600 swapByteOffset=0 ti=16 vIdx=4 rIdx=0 oIdx=0 buffer=1 iui=0
/* localReadsVacancy: latencyLeft 1 */
v_add_f64 v[246:247], -v[vgprValuA_X0_I0+4+0+0+2:vgprValuA_X0_I0+4+0+0+2+1], 0 // Ai=-Ai
v_mfma_f64_16x16x4_f64 v[8+0:15+0], v[vgprG2LB+48+0:vgprG2LB+48+0+1], v[vgprValuA_X0_I0+4+0+0:vgprValuA_X0_I0+4+0+0+1], v[8:15]
 // Cr += Ar*Br
/*  mfmaIndex:85  */
/* localReadsVacancy: latencyLeft 5 */
v_mfma_f64_16x16x4_f64 v[48+0:55+0], v[vgprG2LB+48+0:vgprG2LB+48+0+1], v[vgprValuA_X0_I0+4+0+0+2:vgprValuA_X0_I0+4+0+0+2+1], v[48:55]
 // Ci += Ai*Br
/*  mfmaIndex:86  */
/* localReadsVacancy: latencyLeft 5 */
v_mfma_f64_16x16x4_f64 v[8+0:15+0], v[vgprG2LB+48+0+2:vgprG2LB+48+0+2+1], v[246:247], v[8:15]
 // Cr += -Ai*Bi
/*  mfmaIndex:87  */
/* localReadsVacancy: latencyLeft 5 */
v_mfma_f64_16x16x4_f64 v[48+0:55+0], v[vgprG2LB+48+0+2:vgprG2LB+48+0+2+1], v[vgprValuA_X0_I0+4+0+0:vgprValuA_X0_I0+4+0+0+1], v[48:55]
 // Ci += Ar*Bi
/*  mfmaIndex:88  */
/* localReadsVacancy: latencyLeft 5 */
v_add_f64 v[246:247], -v[vgprValuA_X0_I0+8+0+0+2:vgprValuA_X0_I0+8+0+0+2+1], 0 // Ai=-Ai
v_mfma_f64_16x16x4_f64 v[16+0:23+0], v[vgprG2LB+48+0:vgprG2LB+48+0+1], v[vgprValuA_X0_I0+8+0+0:vgprValuA_X0_I0+8+0+0+1], v[16:23]
 // Cr += Ar*Br
/*  mfmaIndex:89  */
/* localReadsVacancy: latencyLeft 5 */
v_mfma_f64_16x16x4_f64 v[56+0:63+0], v[vgprG2LB+48+0:vgprG2LB+48+0+1], v[vgprValuA_X0_I0+8+0+0+2:vgprValuA_X0_I0+8+0+0+2+1], v[56:63]
 // Ci += Ai*Br
/*  mfmaIndex:90  */
/* localReadsVacancy: latencyLeft 5 */
v_mfma_f64_16x16x4_f64 v[16+0:23+0], v[vgprG2LB+48+0+2:vgprG2LB+48+0+2+1], v[246:247], v[16:23]
 // Cr += -Ai*Bi
/*  mfmaIndex:91  */
/* localReadsVacancy: latencyLeft 5 */
v_mfma_f64_16x16x4_f64 v[56+0:63+0], v[vgprG2LB+48+0+2:vgprG2LB+48+0+2+1], v[vgprValuA_X0_I0+8+0+0:vgprValuA_X0_I0+8+0+0+1], v[56:63]
 // Ci += Ar*Bi
/*  mfmaIndex:92  */
	;; [unrolled: 17-line block ×3, first 2 shown]
/* localReadsVacancy: latencyLeft 5 */
v_add_f64 v[246:247], -v[vgprValuA_X0_I0+16+0+0+2:vgprValuA_X0_I0+16+0+0+2+1], 0 // Ai=-Ai
v_mfma_f64_16x16x4_f64 v[32+0:39+0], v[vgprG2LB+48+0:vgprG2LB+48+0+1], v[vgprValuA_X0_I0+16+0+0:vgprValuA_X0_I0+16+0+0+1], v[32:39]
 // Cr += Ar*Br
/*  mfmaIndex:97  */
/* localReadsVacancy: latencyLeft 5 */
v_mfma_f64_16x16x4_f64 v[72+0:79+0], v[vgprG2LB+48+0:vgprG2LB+48+0+1], v[vgprValuA_X0_I0+16+0+0+2:vgprValuA_X0_I0+16+0+0+2+1], v[72:79]
 // Ci += Ai*Br
/*  mfmaIndex:98  */
/* localReadsVacancy: latencyLeft 5 */
v_mfma_f64_16x16x4_f64 v[32+0:39+0], v[vgprG2LB+48+0+2:vgprG2LB+48+0+2+1], v[246:247], v[32:39]
 // Cr += -Ai*Bi
/*  mfmaIndex:99  */
/* localReadsVacancy: latencyLeft 5 */
v_mfma_f64_16x16x4_f64 v[72+0:79+0], v[vgprG2LB+48+0+2:vgprG2LB+48+0+2+1], v[vgprValuA_X0_I0+16+0+0:vgprValuA_X0_I0+16+0+0+1], v[72:79]
 // Ci += Ar*Bi
/* numPrefetchIter=0 */
/* dataAtIterA=3 numReadsIterA=5 skipReadsIterA=1 readsPerIterA=5 */
/* dataAtIterB=3 numReadsIterB=5 skipReadsIterB=1 readsPerIterB=1 */


/* closeLoop loopL finalLoop=0 tailLoop=1 */
s_sub_i32 s[sgprLoopCounterL], s[sgprLoopCounterL], 0x4 // dec counterL (tailLoop)
s_add_u32 s[sgprOrigLoopCounter], s[sgprOrigLoopCounter], 0x4 // inc counterL
s_cmp_le_i32 s[sgprLoopCounterL], 0x0              // counterL<=0
s_cbranch_scc1 TailLoopEndL_7                      // exit LoopL


/* iter 5 (last unrolled loop) */

s_waitcnt vmcnt(2)                                 // lgkmcnt=-1 vmcnt=2global read wait for DirectToVgpr

/*  grEndMfmaIndex:0, lwStartMfmaIndex:139, lwEndMfmaIndex:139  */
/*  numMfmaForLR:10, barrierMfmaIndex:149, LocalWritePerMfma:1.060 */
/*  mfmaIndex:100  */
_ds_load_b128 v[vgprValuA_X0_I0+0:vgprValuA_X0_I0+0+3], v[vgprLocalReadAddrA] offset:30720 // L -> Reg lro=1920 swapByteOffset=0 ti=16 vIdx=0 rIdx=0 oIdx=0 buffer=0 iui=0
s_waitcnt lgkmcnt(1)                               // lgkmcnt=0 vmcnt=-1wait for prior local read local write old=0, new=1 newLW=0 newLR=1
v_add_f64 v[246:247], -v[vgprValuA_X1_I0+0+0+0+2:vgprValuA_X1_I0+0+0+0+2+1], 0 // Ai=-Ai
v_mfma_f64_16x16x4_f64 v[0+0:7+0], v[vgprG2LB+52+0:vgprG2LB+52+0+1], v[vgprValuA_X1_I0+0+0+0:vgprValuA_X1_I0+0+0+0+1], v[0:7]
 // Cr += Ar*Br
/*  mfmaIndex:101  */
_ds_load_b128 v[vgprValuA_X0_I0+4:vgprValuA_X0_I0+4+3], v[vgprLocalReadAddrA] offset:30976 // L -> Reg lro=1920 swapByteOffset=0 ti=16 vIdx=1 rIdx=0 oIdx=0 buffer=0 iui=0
v_mfma_f64_16x16x4_f64 v[40+0:47+0], v[vgprG2LB+52+0:vgprG2LB+52+0+1], v[vgprValuA_X1_I0+0+0+0+2:vgprValuA_X1_I0+0+0+0+2+1], v[40:47]
 // Ci += Ai*Br
/*  mfmaIndex:102  */
_ds_load_b128 v[vgprValuA_X0_I0+8:vgprValuA_X0_I0+8+3], v[vgprLocalReadAddrA] offset:31232 // L -> Reg lro=1920 swapByteOffset=0 ti=16 vIdx=2 rIdx=0 oIdx=0 buffer=0 iui=0
v_mfma_f64_16x16x4_f64 v[0+0:7+0], v[vgprG2LB+52+0+2:vgprG2LB+52+0+2+1], v[246:247], v[0:7]
 // Cr += -Ai*Bi
/*  mfmaIndex:103  */
_ds_load_b128 v[vgprValuA_X0_I0+12:vgprValuA_X0_I0+12+3], v[vgprLocalReadAddrA] offset:31488 // L -> Reg lro=1920 swapByteOffset=0 ti=16 vIdx=3 rIdx=0 oIdx=0 buffer=0 iui=0
v_mfma_f64_16x16x4_f64 v[40+0:47+0], v[vgprG2LB+52+0+2:vgprG2LB+52+0+2+1], v[vgprValuA_X1_I0+0+0+0:vgprValuA_X1_I0+0+0+0+1], v[40:47]
 // Ci += Ar*Bi
/*  mfmaIndex:104  */
_ds_load_b128 v[vgprValuA_X0_I0+16:vgprValuA_X0_I0+16+3], v[vgprLocalReadAddrA] offset:31744 // L -> Reg lro=1920 swapByteOffset=0 ti=16 vIdx=4 rIdx=0 oIdx=0 buffer=0 iui=0
/* localReadsVacancy: latencyLeft 1 */
v_add_f64 v[246:247], -v[vgprValuA_X1_I0+4+0+0+2:vgprValuA_X1_I0+4+0+0+2+1], 0 // Ai=-Ai
v_mfma_f64_16x16x4_f64 v[8+0:15+0], v[vgprG2LB+52+0:vgprG2LB+52+0+1], v[vgprValuA_X1_I0+4+0+0:vgprValuA_X1_I0+4+0+0+1], v[8:15]
 // Cr += Ar*Br
/*  mfmaIndex:105  */
/* localReadsVacancy: latencyLeft 5 */
v_mfma_f64_16x16x4_f64 v[48+0:55+0], v[vgprG2LB+52+0:vgprG2LB+52+0+1], v[vgprValuA_X1_I0+4+0+0+2:vgprValuA_X1_I0+4+0+0+2+1], v[48:55]
 // Ci += Ai*Br
/*  mfmaIndex:106  */
/* localReadsVacancy: latencyLeft 5 */
v_mfma_f64_16x16x4_f64 v[8+0:15+0], v[vgprG2LB+52+0+2:vgprG2LB+52+0+2+1], v[246:247], v[8:15]
 // Cr += -Ai*Bi
/*  mfmaIndex:107  */
/* localReadsVacancy: latencyLeft 5 */
v_mfma_f64_16x16x4_f64 v[48+0:55+0], v[vgprG2LB+52+0+2:vgprG2LB+52+0+2+1], v[vgprValuA_X1_I0+4+0+0:vgprValuA_X1_I0+4+0+0+1], v[48:55]
 // Ci += Ar*Bi
/*  mfmaIndex:108  */
/* localReadsVacancy: latencyLeft 5 */
v_add_f64 v[246:247], -v[vgprValuA_X1_I0+8+0+0+2:vgprValuA_X1_I0+8+0+0+2+1], 0 // Ai=-Ai
v_mfma_f64_16x16x4_f64 v[16+0:23+0], v[vgprG2LB+52+0:vgprG2LB+52+0+1], v[vgprValuA_X1_I0+8+0+0:vgprValuA_X1_I0+8+0+0+1], v[16:23]
 // Cr += Ar*Br
/*  mfmaIndex:109  */
/* localReadsVacancy: latencyLeft 5 */
v_mfma_f64_16x16x4_f64 v[56+0:63+0], v[vgprG2LB+52+0:vgprG2LB+52+0+1], v[vgprValuA_X1_I0+8+0+0+2:vgprValuA_X1_I0+8+0+0+2+1], v[56:63]
 // Ci += Ai*Br
/*  mfmaIndex:110  */
/* localReadsVacancy: latencyLeft 5 */
v_mfma_f64_16x16x4_f64 v[16+0:23+0], v[vgprG2LB+52+0+2:vgprG2LB+52+0+2+1], v[246:247], v[16:23]
 // Cr += -Ai*Bi
/*  mfmaIndex:111  */
/* localReadsVacancy: latencyLeft 5 */
v_mfma_f64_16x16x4_f64 v[56+0:63+0], v[vgprG2LB+52+0+2:vgprG2LB+52+0+2+1], v[vgprValuA_X1_I0+8+0+0:vgprValuA_X1_I0+8+0+0+1], v[56:63]
 // Ci += Ar*Bi
/*  mfmaIndex:112  */
/* localReadsVacancy: latencyLeft 5 */
v_add_f64 v[246:247], -v[vgprValuA_X1_I0+12+0+0+2:vgprValuA_X1_I0+12+0+0+2+1], 0 // Ai=-Ai
v_mfma_f64_16x16x4_f64 v[24+0:31+0], v[vgprG2LB+52+0:vgprG2LB+52+0+1], v[vgprValuA_X1_I0+12+0+0:vgprValuA_X1_I0+12+0+0+1], v[24:31]
 // Cr += Ar*Br
/*  mfmaIndex:113  */
/* localReadsVacancy: latencyLeft 5 */
v_mfma_f64_16x16x4_f64 v[64+0:71+0], v[vgprG2LB+52+0:vgprG2LB+52+0+1], v[vgprValuA_X1_I0+12+0+0+2:vgprValuA_X1_I0+12+0+0+2+1], v[64:71]
 // Ci += Ai*Br
/*  mfmaIndex:114  */
/* localReadsVacancy: latencyLeft 5 */
v_mfma_f64_16x16x4_f64 v[24+0:31+0], v[vgprG2LB+52+0+2:vgprG2LB+52+0+2+1], v[246:247], v[24:31]
 // Cr += -Ai*Bi
/*  mfmaIndex:115  */
/* localReadsVacancy: latencyLeft 5 */
v_mfma_f64_16x16x4_f64 v[64+0:71+0], v[vgprG2LB+52+0+2:vgprG2LB+52+0+2+1], v[vgprValuA_X1_I0+12+0+0:vgprValuA_X1_I0+12+0+0+1], v[64:71]
 // Ci += Ar*Bi
/*  mfmaIndex:116  */
/* localReadsVacancy: latencyLeft 5 */
v_add_f64 v[246:247], -v[vgprValuA_X1_I0+16+0+0+2:vgprValuA_X1_I0+16+0+0+2+1], 0 // Ai=-Ai
v_mfma_f64_16x16x4_f64 v[32+0:39+0], v[vgprG2LB+52+0:vgprG2LB+52+0+1], v[vgprValuA_X1_I0+16+0+0:vgprValuA_X1_I0+16+0+0+1], v[32:39]
 // Cr += Ar*Br
/*  mfmaIndex:117  */
/* localReadsVacancy: latencyLeft 5 */
v_mfma_f64_16x16x4_f64 v[72+0:79+0], v[vgprG2LB+52+0:vgprG2LB+52+0+1], v[vgprValuA_X1_I0+16+0+0+2:vgprValuA_X1_I0+16+0+0+2+1], v[72:79]
 // Ci += Ai*Br
/*  mfmaIndex:118  */
/* localReadsVacancy: latencyLeft 5 */
v_mfma_f64_16x16x4_f64 v[32+0:39+0], v[vgprG2LB+52+0+2:vgprG2LB+52+0+2+1], v[246:247], v[32:39]
 // Cr += -Ai*Bi
/*  mfmaIndex:119  */
/* localReadsVacancy: latencyLeft 5 */
v_mfma_f64_16x16x4_f64 v[72+0:79+0], v[vgprG2LB+52+0+2:vgprG2LB+52+0+2+1], v[vgprValuA_X1_I0+16+0+0:vgprValuA_X1_I0+16+0+0+1], v[72:79]
 // Ci += Ar*Bi
/* numPrefetchIter=0 */
/* dataAtIterA=4 numReadsIterA=6 skipReadsIterA=1 readsPerIterA=5 */
/* dataAtIterB=4 numReadsIterB=6 skipReadsIterB=1 readsPerIterB=1 */


/* closeLoop loopL finalLoop=0 tailLoop=1 */
s_sub_i32 s[sgprLoopCounterL], s[sgprLoopCounterL], 0x4 // dec counterL (tailLoop)
s_add_u32 s[sgprOrigLoopCounter], s[sgprOrigLoopCounter], 0x4 // inc counterL
s_cmp_le_i32 s[sgprLoopCounterL], 0x0              // counterL<=0
s_cbranch_scc1 TailLoopEndL_7                      // exit LoopL


/* iter 6 (last unrolled loop) */

s_waitcnt vmcnt(1)                                 // lgkmcnt=-1 vmcnt=1global read wait for DirectToVgpr

/*  grEndMfmaIndex:0, lwStartMfmaIndex:139, lwEndMfmaIndex:139  */
/*  numMfmaForLR:10, barrierMfmaIndex:149, LocalWritePerMfma:1.060 */
/*  mfmaIndex:120  */
_ds_load_b128 v[vgprValuA_X1_I0+0:vgprValuA_X1_I0+0+3], v[vgprLocalReadAddrA] offset:35840 // L -> Reg lro=2240 swapByteOffset=0 ti=16 vIdx=0 rIdx=0 oIdx=0 buffer=1 iui=0
s_waitcnt lgkmcnt(1)                               // lgkmcnt=0 vmcnt=-1wait for prior local read local write old=0, new=1 newLW=0 newLR=1
v_add_f64 v[246:247], -v[vgprValuA_X0_I0+0+0+0+2:vgprValuA_X0_I0+0+0+0+2+1], 0 // Ai=-Ai
v_mfma_f64_16x16x4_f64 v[0+0:7+0], v[vgprG2LB+56+0:vgprG2LB+56+0+1], v[vgprValuA_X0_I0+0+0+0:vgprValuA_X0_I0+0+0+0+1], v[0:7]
 // Cr += Ar*Br
/*  mfmaIndex:121  */
_ds_load_b128 v[vgprValuA_X1_I0+4:vgprValuA_X1_I0+4+3], v[vgprLocalReadAddrA] offset:36096 // L -> Reg lro=2240 swapByteOffset=0 ti=16 vIdx=1 rIdx=0 oIdx=0 buffer=1 iui=0
v_mfma_f64_16x16x4_f64 v[40+0:47+0], v[vgprG2LB+56+0:vgprG2LB+56+0+1], v[vgprValuA_X0_I0+0+0+0+2:vgprValuA_X0_I0+0+0+0+2+1], v[40:47]
 // Ci += Ai*Br
/*  mfmaIndex:122  */
_ds_load_b128 v[vgprValuA_X1_I0+8:vgprValuA_X1_I0+8+3], v[vgprLocalReadAddrA] offset:36352 // L -> Reg lro=2240 swapByteOffset=0 ti=16 vIdx=2 rIdx=0 oIdx=0 buffer=1 iui=0
v_mfma_f64_16x16x4_f64 v[0+0:7+0], v[vgprG2LB+56+0+2:vgprG2LB+56+0+2+1], v[246:247], v[0:7]
 // Cr += -Ai*Bi
/*  mfmaIndex:123  */
_ds_load_b128 v[vgprValuA_X1_I0+12:vgprValuA_X1_I0+12+3], v[vgprLocalReadAddrA] offset:36608 // L -> Reg lro=2240 swapByteOffset=0 ti=16 vIdx=3 rIdx=0 oIdx=0 buffer=1 iui=0
v_mfma_f64_16x16x4_f64 v[40+0:47+0], v[vgprG2LB+56+0+2:vgprG2LB+56+0+2+1], v[vgprValuA_X0_I0+0+0+0:vgprValuA_X0_I0+0+0+0+1], v[40:47]
 // Ci += Ar*Bi
/*  mfmaIndex:124  */
_ds_load_b128 v[vgprValuA_X1_I0+16:vgprValuA_X1_I0+16+3], v[vgprLocalReadAddrA] offset:36864 // L -> Reg lro=2240 swapByteOffset=0 ti=16 vIdx=4 rIdx=0 oIdx=0 buffer=1 iui=0
/* localReadsVacancy: latencyLeft 1 */
v_add_f64 v[246:247], -v[vgprValuA_X0_I0+4+0+0+2:vgprValuA_X0_I0+4+0+0+2+1], 0 // Ai=-Ai
v_mfma_f64_16x16x4_f64 v[8+0:15+0], v[vgprG2LB+56+0:vgprG2LB+56+0+1], v[vgprValuA_X0_I0+4+0+0:vgprValuA_X0_I0+4+0+0+1], v[8:15]
 // Cr += Ar*Br
/*  mfmaIndex:125  */
/* localReadsVacancy: latencyLeft 5 */
v_mfma_f64_16x16x4_f64 v[48+0:55+0], v[vgprG2LB+56+0:vgprG2LB+56+0+1], v[vgprValuA_X0_I0+4+0+0+2:vgprValuA_X0_I0+4+0+0+2+1], v[48:55]
 // Ci += Ai*Br
/*  mfmaIndex:126  */
/* localReadsVacancy: latencyLeft 5 */
v_mfma_f64_16x16x4_f64 v[8+0:15+0], v[vgprG2LB+56+0+2:vgprG2LB+56+0+2+1], v[246:247], v[8:15]
 // Cr += -Ai*Bi
/*  mfmaIndex:127  */
/* localReadsVacancy: latencyLeft 5 */
v_mfma_f64_16x16x4_f64 v[48+0:55+0], v[vgprG2LB+56+0+2:vgprG2LB+56+0+2+1], v[vgprValuA_X0_I0+4+0+0:vgprValuA_X0_I0+4+0+0+1], v[48:55]
 // Ci += Ar*Bi
/*  mfmaIndex:128  */
/* localReadsVacancy: latencyLeft 5 */
v_add_f64 v[246:247], -v[vgprValuA_X0_I0+8+0+0+2:vgprValuA_X0_I0+8+0+0+2+1], 0 // Ai=-Ai
v_mfma_f64_16x16x4_f64 v[16+0:23+0], v[vgprG2LB+56+0:vgprG2LB+56+0+1], v[vgprValuA_X0_I0+8+0+0:vgprValuA_X0_I0+8+0+0+1], v[16:23]
 // Cr += Ar*Br
/*  mfmaIndex:129  */
/* localReadsVacancy: latencyLeft 5 */
v_mfma_f64_16x16x4_f64 v[56+0:63+0], v[vgprG2LB+56+0:vgprG2LB+56+0+1], v[vgprValuA_X0_I0+8+0+0+2:vgprValuA_X0_I0+8+0+0+2+1], v[56:63]
 // Ci += Ai*Br
/*  mfmaIndex:130  */
/* localReadsVacancy: latencyLeft 5 */
v_mfma_f64_16x16x4_f64 v[16+0:23+0], v[vgprG2LB+56+0+2:vgprG2LB+56+0+2+1], v[246:247], v[16:23]
 // Cr += -Ai*Bi
/*  mfmaIndex:131  */
/* localReadsVacancy: latencyLeft 5 */
v_mfma_f64_16x16x4_f64 v[56+0:63+0], v[vgprG2LB+56+0+2:vgprG2LB+56+0+2+1], v[vgprValuA_X0_I0+8+0+0:vgprValuA_X0_I0+8+0+0+1], v[56:63]
 // Ci += Ar*Bi
/*  mfmaIndex:132  */
	;; [unrolled: 17-line block ×3, first 2 shown]
/* localReadsVacancy: latencyLeft 5 */
v_add_f64 v[246:247], -v[vgprValuA_X0_I0+16+0+0+2:vgprValuA_X0_I0+16+0+0+2+1], 0 // Ai=-Ai
v_mfma_f64_16x16x4_f64 v[32+0:39+0], v[vgprG2LB+56+0:vgprG2LB+56+0+1], v[vgprValuA_X0_I0+16+0+0:vgprValuA_X0_I0+16+0+0+1], v[32:39]
 // Cr += Ar*Br
/*  mfmaIndex:137  */
/* localReadsVacancy: latencyLeft 5 */
v_mfma_f64_16x16x4_f64 v[72+0:79+0], v[vgprG2LB+56+0:vgprG2LB+56+0+1], v[vgprValuA_X0_I0+16+0+0+2:vgprValuA_X0_I0+16+0+0+2+1], v[72:79]
 // Ci += Ai*Br
/*  mfmaIndex:138  */
/* localReadsVacancy: latencyLeft 5 */
/* 1 LDS buffer: read-sync-write */
s_waitcnt lgkmcnt(0)                               // 
s_barrier                                          // 
v_mfma_f64_16x16x4_f64 v[32+0:39+0], v[vgprG2LB+56+0+2:vgprG2LB+56+0+2+1], v[246:247], v[32:39]
 // Cr += -Ai*Bi
/*  mfmaIndex:139  */
/* localReadsVacancy: latencyLeft 5 */
v_mfma_f64_16x16x4_f64 v[72+0:79+0], v[vgprG2LB+56+0+2:vgprG2LB+56+0+2+1], v[vgprValuA_X0_I0+16+0+0:vgprValuA_X0_I0+16+0+0+1], v[72:79]
 // Ci += Ar*Bi
/* numPrefetchIter=0 */
/* dataAtIterA=5 numReadsIterA=7 skipReadsIterA=1 readsPerIterA=5 */
/* dataAtIterB=5 numReadsIterB=7 skipReadsIterB=1 readsPerIterB=1 */


/* closeLoop loopL finalLoop=0 tailLoop=1 */
s_sub_i32 s[sgprLoopCounterL], s[sgprLoopCounterL], 0x4 // dec counterL (tailLoop)
s_add_u32 s[sgprOrigLoopCounter], s[sgprOrigLoopCounter], 0x4 // inc counterL
s_cmp_le_i32 s[sgprLoopCounterL], 0x0              // counterL<=0
s_cbranch_scc1 TailLoopEndL_7                      // exit LoopL


/* iter 7 (last unrolled loop) */

s_waitcnt vmcnt(0)                                 // lgkmcnt=-1 vmcnt=0global read wait for DirectToVgpr

/*  grEndMfmaIndex:0, lwStartMfmaIndex:139, lwEndMfmaIndex:139  */
/*  numMfmaForLR:10, barrierMfmaIndex:149, LocalWritePerMfma:1.060 */
/*  mfmaIndex:140  */
s_waitcnt lgkmcnt(0)                               // lgkmcnt=0 vmcnt=-1wait for prior local read local write old=0, new=0 newLW=0 newLR=0
v_add_f64 v[246:247], -v[vgprValuA_X1_I0+0+0+0+2:vgprValuA_X1_I0+0+0+0+2+1], 0 // Ai=-Ai
v_mfma_f64_16x16x4_f64 v[0+0:7+0], v[vgprG2LB+60+0:vgprG2LB+60+0+1], v[vgprValuA_X1_I0+0+0+0:vgprValuA_X1_I0+0+0+0+1], v[0:7]
 // Cr += Ar*Br
/*  mfmaIndex:141  */
v_mfma_f64_16x16x4_f64 v[40+0:47+0], v[vgprG2LB+60+0:vgprG2LB+60+0+1], v[vgprValuA_X1_I0+0+0+0+2:vgprValuA_X1_I0+0+0+0+2+1], v[40:47]
 // Ci += Ai*Br
/*  mfmaIndex:142  */
v_mfma_f64_16x16x4_f64 v[0+0:7+0], v[vgprG2LB+60+0+2:vgprG2LB+60+0+2+1], v[246:247], v[0:7]
 // Cr += -Ai*Bi
/*  mfmaIndex:143  */
v_mfma_f64_16x16x4_f64 v[40+0:47+0], v[vgprG2LB+60+0+2:vgprG2LB+60+0+2+1], v[vgprValuA_X1_I0+0+0+0:vgprValuA_X1_I0+0+0+0+1], v[40:47]
 // Ci += Ar*Bi
/*  mfmaIndex:144  */
v_add_f64 v[246:247], -v[vgprValuA_X1_I0+4+0+0+2:vgprValuA_X1_I0+4+0+0+2+1], 0 // Ai=-Ai
v_mfma_f64_16x16x4_f64 v[8+0:15+0], v[vgprG2LB+60+0:vgprG2LB+60+0+1], v[vgprValuA_X1_I0+4+0+0:vgprValuA_X1_I0+4+0+0+1], v[8:15]
 // Cr += Ar*Br
/*  mfmaIndex:145  */
v_mfma_f64_16x16x4_f64 v[48+0:55+0], v[vgprG2LB+60+0:vgprG2LB+60+0+1], v[vgprValuA_X1_I0+4+0+0+2:vgprValuA_X1_I0+4+0+0+2+1], v[48:55]
 // Ci += Ai*Br
/*  mfmaIndex:146  */
v_mfma_f64_16x16x4_f64 v[8+0:15+0], v[vgprG2LB+60+0+2:vgprG2LB+60+0+2+1], v[246:247], v[8:15]
 // Cr += -Ai*Bi
/*  mfmaIndex:147  */
v_mfma_f64_16x16x4_f64 v[48+0:55+0], v[vgprG2LB+60+0+2:vgprG2LB+60+0+2+1], v[vgprValuA_X1_I0+4+0+0:vgprValuA_X1_I0+4+0+0+1], v[48:55]
 // Ci += Ar*Bi
/*  mfmaIndex:148  */
v_add_f64 v[246:247], -v[vgprValuA_X1_I0+8+0+0+2:vgprValuA_X1_I0+8+0+0+2+1], 0 // Ai=-Ai
v_mfma_f64_16x16x4_f64 v[16+0:23+0], v[vgprG2LB+60+0:vgprG2LB+60+0+1], v[vgprValuA_X1_I0+8+0+0:vgprValuA_X1_I0+8+0+0+1], v[16:23]
 // Cr += Ar*Br
/*  mfmaIndex:149  */
v_mfma_f64_16x16x4_f64 v[56+0:63+0], v[vgprG2LB+60+0:vgprG2LB+60+0+1], v[vgprValuA_X1_I0+8+0+0+2:vgprValuA_X1_I0+8+0+0+2+1], v[56:63]
 // Ci += Ai*Br
/*  mfmaIndex:150  */
v_mfma_f64_16x16x4_f64 v[16+0:23+0], v[vgprG2LB+60+0+2:vgprG2LB+60+0+2+1], v[246:247], v[16:23]
 // Cr += -Ai*Bi
/*  mfmaIndex:151  */
v_mfma_f64_16x16x4_f64 v[56+0:63+0], v[vgprG2LB+60+0+2:vgprG2LB+60+0+2+1], v[vgprValuA_X1_I0+8+0+0:vgprValuA_X1_I0+8+0+0+1], v[56:63]
 // Ci += Ar*Bi
/*  mfmaIndex:152  */
v_add_f64 v[246:247], -v[vgprValuA_X1_I0+12+0+0+2:vgprValuA_X1_I0+12+0+0+2+1], 0 // Ai=-Ai
v_mfma_f64_16x16x4_f64 v[24+0:31+0], v[vgprG2LB+60+0:vgprG2LB+60+0+1], v[vgprValuA_X1_I0+12+0+0:vgprValuA_X1_I0+12+0+0+1], v[24:31]
 // Cr += Ar*Br
/*  mfmaIndex:153  */
v_mfma_f64_16x16x4_f64 v[64+0:71+0], v[vgprG2LB+60+0:vgprG2LB+60+0+1], v[vgprValuA_X1_I0+12+0+0+2:vgprValuA_X1_I0+12+0+0+2+1], v[64:71]
 // Ci += Ai*Br
/*  mfmaIndex:154  */
v_mfma_f64_16x16x4_f64 v[24+0:31+0], v[vgprG2LB+60+0+2:vgprG2LB+60+0+2+1], v[246:247], v[24:31]
 // Cr += -Ai*Bi
/*  mfmaIndex:155  */
v_mfma_f64_16x16x4_f64 v[64+0:71+0], v[vgprG2LB+60+0+2:vgprG2LB+60+0+2+1], v[vgprValuA_X1_I0+12+0+0:vgprValuA_X1_I0+12+0+0+1], v[64:71]
 // Ci += Ar*Bi
/*  mfmaIndex:156  */
v_add_f64 v[246:247], -v[vgprValuA_X1_I0+16+0+0+2:vgprValuA_X1_I0+16+0+0+2+1], 0 // Ai=-Ai
v_mfma_f64_16x16x4_f64 v[32+0:39+0], v[vgprG2LB+60+0:vgprG2LB+60+0+1], v[vgprValuA_X1_I0+16+0+0:vgprValuA_X1_I0+16+0+0+1], v[32:39]
 // Cr += Ar*Br
/*  mfmaIndex:157  */
v_mfma_f64_16x16x4_f64 v[72+0:79+0], v[vgprG2LB+60+0:vgprG2LB+60+0+1], v[vgprValuA_X1_I0+16+0+0+2:vgprValuA_X1_I0+16+0+0+2+1], v[72:79]
 // Ci += Ai*Br
/*  mfmaIndex:158  */
v_mfma_f64_16x16x4_f64 v[32+0:39+0], v[vgprG2LB+60+0+2:vgprG2LB+60+0+2+1], v[246:247], v[32:39]
 // Cr += -Ai*Bi
/*  mfmaIndex:159  */
v_mfma_f64_16x16x4_f64 v[72+0:79+0], v[vgprG2LB+60+0+2:vgprG2LB+60+0+2+1], v[vgprValuA_X1_I0+16+0+0:vgprValuA_X1_I0+16+0+0+1], v[72:79]
 // Ci += Ar*Bi
/* numPrefetchIter=0 */
/* dataAtIterA=6 numReadsIterA=7 skipReadsIterA=0 readsPerIterA=5 */
/* dataAtIterB=6 numReadsIterB=7 skipReadsIterB=0 readsPerIterB=1 */

TailLoopEndL_7:

label_0039: // EvenEndNoLoadLoopOrd 

s_waitcnt lgkmcnt(0)                               // lgkmcnt=0 vmcnt=-113wait for remaining local read for tail loop in NLL

s_waitcnt vmcnt(0)                                 // lgkmcnt=-1 vmcnt=014wait for remaining DirectToVgpr global read for tail loop in NLL

PrefetchGlobalLastIterEnd_5:

Summation_End_40:
/* endSummation: add vgpr [80...244) to pool */

/* Mapping of Acc register -> C Vgpr register */

/* Multiply MI out register with Alpha -> C Vgpr register */


	;; [unrolled: 1-line block ×3, first 2 shown]
/* not-LocalSplitU: global write indices */

/* computeStoreVgprs */
v_lshrrev_b32 v84, 6, v[vgprSerial]                // v84 = v[vgprSerial] / 64
v_and_b32 v81, 63, v[vgprSerial]                   // v81 = v[vgprSerial] % 64
v_lshrrev_b32 v81, 4, v81                          // v81 = v81 / 16
                                                   // thread0 * continuous_output (multiplier is 1, do nothing)
v_lshrrev_b32 v85, 0, v84                          // v85 = v84 / 1
v_mul_lo_u32 v85, 0x10, v85                        // wave coordination offset 1
_v_add_lshl_u32 v81, v85, v81, 0                   // coordination 1 = vwb *(wave_id1 + tid1)
v_mul_lo_u32 v82, v81, s[sgprStrideC1J]            //  offset 1
v_mul_lo_u32 v83, v81, s[sgprStrideD1J]            //  offset 1
v_and_b32 v85, 0, v84                              // v85 = v84 % 1
v_and_b32 v80, 15, v[vgprSerial]                   // v80 = v[vgprSerial] % 16
_v_add_lshl_u32 v80, v85, v80, 0                   // coordination 0 = vwa *(wave_id0 + tid0)
s_mul_i32 s31, 80, s[sgprWorkGroup0]               // wgp0 * MT0
_v_add_u32 v80, s31, v80                           // coord 0 = (tid0/MI_m)*4 + waveG0*MIB_m + MT0*SG0
s_mul_i32 s31, 64, s[sgprWorkGroup1]               // wgp1 * MT1
_v_add_u32 v81, s31, v81                           // coord 1 = (tid0%MI_m) + waveG1*MIB_n + MT1*SG1


/* not-LocalSplitU: global write */

s_mov_b32 s31, s[sgprBeta+0]                       // tmp = Beta[0]
s_or_b32 s31, s[sgprBeta+1], s31                   // tmp |= Beta[1] 
s_or_b32 s31, s[sgprBeta+2], s31                   // tmp |= Beta[2] 
	;; [unrolled: 1-line block ×3, first 2 shown]
s_cmpk_eq_u32 s31, 0x0                             // Beta == 0
s_cbranch_scc0 GW_Beta_55                          // Branch if Beta is not zero

s_mov_b32 s35, 0x0                                 // STATIC_DIV: divisior=80
s_mul_i32 s34, 0x666, s[sgprSizeI]                 // tmp1 = dividend * magic hi
s_lshl_b64 s[34:35], s[34:35], 0x10                // left shift 16 bits
s_mul_i32 s33, s[sgprSizeI], 0x6667                // tmp0 = dividend * magic lo
s_add_u32 s34, s33, s34                            // add lo
s_addc_u32 s35, s35, 0x0                           // add hi
s_lshr_b64 s[34:35], s[34:35], 0x21                // tmp1 = (dividend * magic) << shift
s_mov_b32 s33, s34                                 // quotient
s_mul_i32 s34, s33, 0x50                           // quotient*divisor
s_sub_u32 s32, s[sgprSizeI], s34                   // rReg = dividend - quotient*divisor
s_add_u32 s33, -0x1, s[sgprNumWorkGroups0]         // 
s_cmp_ge_u32 s[sgprWorkGroup0], s33                // wg0 >= nwg0-1 ?
s_cselect_b32 s32, s32, 0                          // set rMT0
s_cmpk_gt_u32 s32, 0x0                             // rMT0 > 0
s_cbranch_scc1 GW_B0_E1_46                         // jump if edges required
s_and_b32 s32, 63, s[sgprSizeJ]                    // s32 = s[sgprSizeJ] % 64
s_add_u32 s33, -0x1, s[sgprNumWorkGroups1]         // 
s_cmp_ge_u32 s[sgprWorkGroup1], s33                // wg1 >= nwg1-1
s_cselect_b32 s32, s32, 0                          // set rMT1
s_cmpk_gt_u32 s32, 0x0                             // rMT1 > 0
s_cbranch_scc1 GW_B0_E1_46                         // jump if edges required
GW_B0_E0_43:

/* edge=0, allocate 2 sgpr. perBatchTmpS=2 perBatchMaskS=0 perElementMaskS=0 elementsPerBatch=2 */
/* optSingleColVgpr=1 optSharedColVgpr=0 optSGPRUsage=BufferLoad_Mask optSrdIncForRow=1 */

/******************************************/
/* Global Write Alpha Batch #0 (d1,d0,vc1,vc0) = */
/*    (0,0,0,0:vw1); (0,1,0,0:vw1)        */
/******************************************/

/* calc coords, apply mask, and issue loads (if necessary) */
/* (d1,vc1,d0,vc0)=(0,0,0,0) */
/* (d1,vc1,d0,vc0)=(0,0,1,0) */
_v_add_lshl_u32 v88, v83, v80, 0x4                 // optSingleColVgpr scaleToBpe: sharedAddrVgpr <- cinRowPtr + coord0, scaled by BPE. BSHERE:coord0=80, coord0Vgpr=80

/* rC *= alpha batchElements=[(0, 0, 0, 0), (0, 1, 0, 0)] */
v_mul_f64 v[84:85], s[sgprAlpha+0:sgprAlpha+0+1], v[vgprValuC+0:vgprValuC+0+1] // 
v_mul_f64 v[86:87], s[sgprAlpha+2:sgprAlpha+2+1], v[vgprValuC+0:vgprValuC+0+1] // 
v_fma_f64 v[vgprValuC+92:vgprValuC+92+1], s[sgprAlpha+2:sgprAlpha+2+1], -v[vgprValuC+40:vgprValuC+40+1], v[84:85]
v_fma_f64 v[vgprValuC+92 +2:vgprValuC+92 +2+1], s[sgprAlpha+0:sgprAlpha+0+1], v[vgprValuC+40:vgprValuC+40+1], v[86:87]
v_mul_f64 v[84:85], s[sgprAlpha+0:sgprAlpha+0+1], v[vgprValuC+8:vgprValuC+8+1] // 
v_mul_f64 v[86:87], s[sgprAlpha+2:sgprAlpha+2+1], v[vgprValuC+8:vgprValuC+8+1] // 
v_fma_f64 v[vgprValuC+96:vgprValuC+96+1], s[sgprAlpha+2:sgprAlpha+2+1], -v[vgprValuC+48:vgprValuC+48+1], v[84:85]
v_fma_f64 v[vgprValuC+96 +2:vgprValuC+96 +2+1], s[sgprAlpha+0:sgprAlpha+0+1], v[vgprValuC+48:vgprValuC+48+1], v[86:87]

/* apply mask, calc new C and issue writes */
_buffer_store_b128 v[92:95], v88, s[sgprSrdD:sgprSrdD+3], 0, offen, offset:0 // store D
_buffer_store_b128 v[96:99], v88, s[sgprSrdD:sgprSrdD+3], 0, offen, offset:256 // store D
s_nop 0                                            // 1 wait state required when next inst writes vgprs held by previous dwordx4 store inst
/* optSingleColVgpr=1 optSharedColVgpr=0 optSGPRUsage=BufferLoad_Mask optSrdIncForRow=1 */

/******************************************/
/* Global Write Alpha Batch #1 (d1,d0,vc1,vc0) = */
/*    (0,2,0,0:vw1); (0,3,0,0:vw1)        */
/******************************************/

/* calc coords, apply mask, and issue loads (if necessary) */
/* (d1,vc1,d0,vc0)=(0,0,2,0) */
/* (d1,vc1,d0,vc0)=(0,0,3,0) */

/* rC *= alpha batchElements=[(0, 2, 0, 0), (0, 3, 0, 0)] */
v_mul_f64 v[84:85], s[sgprAlpha+0:sgprAlpha+0+1], v[vgprValuC+16:vgprValuC+16+1] // 
v_mul_f64 v[86:87], s[sgprAlpha+2:sgprAlpha+2+1], v[vgprValuC+16:vgprValuC+16+1] // 
v_fma_f64 v[vgprValuC+92:vgprValuC+92+1], s[sgprAlpha+2:sgprAlpha+2+1], -v[vgprValuC+56:vgprValuC+56+1], v[84:85]
v_fma_f64 v[vgprValuC+92 +2:vgprValuC+92 +2+1], s[sgprAlpha+0:sgprAlpha+0+1], v[vgprValuC+56:vgprValuC+56+1], v[86:87]
v_mul_f64 v[84:85], s[sgprAlpha+0:sgprAlpha+0+1], v[vgprValuC+24:vgprValuC+24+1] // 
v_mul_f64 v[86:87], s[sgprAlpha+2:sgprAlpha+2+1], v[vgprValuC+24:vgprValuC+24+1] // 
v_fma_f64 v[vgprValuC+96:vgprValuC+96+1], s[sgprAlpha+2:sgprAlpha+2+1], -v[vgprValuC+64:vgprValuC+64+1], v[84:85]
v_fma_f64 v[vgprValuC+96 +2:vgprValuC+96 +2+1], s[sgprAlpha+0:sgprAlpha+0+1], v[vgprValuC+64:vgprValuC+64+1], v[86:87]

/* apply mask, calc new C and issue writes */
_buffer_store_b128 v[92:95], v88, s[sgprSrdD:sgprSrdD+3], 0, offen, offset:512 // store D
_buffer_store_b128 v[96:99], v88, s[sgprSrdD:sgprSrdD+3], 0, offen, offset:768 // store D
s_nop 0                                            // 1 wait state required when next inst writes vgprs held by previous dwordx4 store inst
/* optSingleColVgpr=1 optSharedColVgpr=0 optSGPRUsage=BufferLoad_Mask optSrdIncForRow=1 */

/******************************************/
/* Global Write Alpha Batch #2 (d1,d0,vc1,vc0) = */
/*    (0,4,0,0:vw1); (1,0,0,0:vw1)        */
/******************************************/

/* calc coords, apply mask, and issue loads (if necessary) */
/* (d1,vc1,d0,vc0)=(0,0,4,0) */
/* (d1,vc1,d0,vc0)=(1,0,0,0) */

/* rC *= alpha batchElements=[(0, 4, 0, 0), (1, 0, 0, 0)] */
v_mul_f64 v[84:85], s[sgprAlpha+0:sgprAlpha+0+1], v[vgprValuC+32:vgprValuC+32+1] // 
v_mul_f64 v[86:87], s[sgprAlpha+2:sgprAlpha+2+1], v[vgprValuC+32:vgprValuC+32+1] // 
v_fma_f64 v[vgprValuC+92:vgprValuC+92+1], s[sgprAlpha+2:sgprAlpha+2+1], -v[vgprValuC+72:vgprValuC+72+1], v[84:85]
v_fma_f64 v[vgprValuC+92 +2:vgprValuC+92 +2+1], s[sgprAlpha+0:sgprAlpha+0+1], v[vgprValuC+72:vgprValuC+72+1], v[86:87]
v_mul_f64 v[84:85], s[sgprAlpha+0:sgprAlpha+0+1], v[vgprValuC+2:vgprValuC+2+1] // 
v_mul_f64 v[86:87], s[sgprAlpha+2:sgprAlpha+2+1], v[vgprValuC+2:vgprValuC+2+1] // 
v_fma_f64 v[vgprValuC+96:vgprValuC+96+1], s[sgprAlpha+2:sgprAlpha+2+1], -v[vgprValuC+42:vgprValuC+42+1], v[84:85]
v_fma_f64 v[vgprValuC+96 +2:vgprValuC+96 +2+1], s[sgprAlpha+0:sgprAlpha+0+1], v[vgprValuC+42:vgprValuC+42+1], v[86:87]

/* apply mask, calc new C and issue writes */
_buffer_store_b128 v[92:95], v88, s[sgprSrdD:sgprSrdD+3], 0, offen, offset:1024 // store D
s_mul_i32 s32, s[sgprStrideD1J], 64                // scale StrideD *= numRows(4) * bpe
s_add_u32  s[sgprSrdD+0], s[sgprSrdD+0], s32       // incToNextRow: gra SRD += inc(lower)
s_addc_u32  s[sgprSrdD+1], s[sgprSrdD+1], 0        // incToNextRow: gra SRD += inc(upper)
_buffer_store_b128 v[96:99], v88, s[sgprSrdD:sgprSrdD+3], 0, offen, offset:0 // store D
s_nop 0                                            // 1 wait state required when next inst writes vgprs held by previous dwordx4 store inst
/* optSingleColVgpr=1 optSharedColVgpr=0 optSGPRUsage=BufferLoad_Mask optSrdIncForRow=1 */

/******************************************/
/* Global Write Alpha Batch #3 (d1,d0,vc1,vc0) = */
/*    (1,1,0,0:vw1); (1,2,0,0:vw1)        */
/******************************************/

/* calc coords, apply mask, and issue loads (if necessary) */
/* (d1,vc1,d0,vc0)=(1,0,1,0) */
/* (d1,vc1,d0,vc0)=(1,0,2,0) */

/* rC *= alpha batchElements=[(1, 1, 0, 0), (1, 2, 0, 0)] */
v_mul_f64 v[84:85], s[sgprAlpha+0:sgprAlpha+0+1], v[vgprValuC+10:vgprValuC+10+1] // 
v_mul_f64 v[86:87], s[sgprAlpha+2:sgprAlpha+2+1], v[vgprValuC+10:vgprValuC+10+1] // 
v_fma_f64 v[vgprValuC+92:vgprValuC+92+1], s[sgprAlpha+2:sgprAlpha+2+1], -v[vgprValuC+50:vgprValuC+50+1], v[84:85]
v_fma_f64 v[vgprValuC+92 +2:vgprValuC+92 +2+1], s[sgprAlpha+0:sgprAlpha+0+1], v[vgprValuC+50:vgprValuC+50+1], v[86:87]
v_mul_f64 v[84:85], s[sgprAlpha+0:sgprAlpha+0+1], v[vgprValuC+18:vgprValuC+18+1] // 
v_mul_f64 v[86:87], s[sgprAlpha+2:sgprAlpha+2+1], v[vgprValuC+18:vgprValuC+18+1] // 
v_fma_f64 v[vgprValuC+96:vgprValuC+96+1], s[sgprAlpha+2:sgprAlpha+2+1], -v[vgprValuC+58:vgprValuC+58+1], v[84:85]
v_fma_f64 v[vgprValuC+96 +2:vgprValuC+96 +2+1], s[sgprAlpha+0:sgprAlpha+0+1], v[vgprValuC+58:vgprValuC+58+1], v[86:87]

/* apply mask, calc new C and issue writes */
_buffer_store_b128 v[92:95], v88, s[sgprSrdD:sgprSrdD+3], 0, offen, offset:256 // store D
_buffer_store_b128 v[96:99], v88, s[sgprSrdD:sgprSrdD+3], 0, offen, offset:512 // store D
s_nop 0                                            // 1 wait state required when next inst writes vgprs held by previous dwordx4 store inst
/* optSingleColVgpr=1 optSharedColVgpr=0 optSGPRUsage=BufferLoad_Mask optSrdIncForRow=1 */

/******************************************/
/* Global Write Alpha Batch #4 (d1,d0,vc1,vc0) = */
/*    (1,3,0,0:vw1); (1,4,0,0:vw1)        */
/******************************************/

/* calc coords, apply mask, and issue loads (if necessary) */
/* (d1,vc1,d0,vc0)=(1,0,3,0) */
/* (d1,vc1,d0,vc0)=(1,0,4,0) */

/* rC *= alpha batchElements=[(1, 3, 0, 0), (1, 4, 0, 0)] */
v_mul_f64 v[84:85], s[sgprAlpha+0:sgprAlpha+0+1], v[vgprValuC+26:vgprValuC+26+1] // 
v_mul_f64 v[86:87], s[sgprAlpha+2:sgprAlpha+2+1], v[vgprValuC+26:vgprValuC+26+1] // 
v_fma_f64 v[vgprValuC+92:vgprValuC+92+1], s[sgprAlpha+2:sgprAlpha+2+1], -v[vgprValuC+66:vgprValuC+66+1], v[84:85]
v_fma_f64 v[vgprValuC+92 +2:vgprValuC+92 +2+1], s[sgprAlpha+0:sgprAlpha+0+1], v[vgprValuC+66:vgprValuC+66+1], v[86:87]
v_mul_f64 v[84:85], s[sgprAlpha+0:sgprAlpha+0+1], v[vgprValuC+34:vgprValuC+34+1] // 
v_mul_f64 v[86:87], s[sgprAlpha+2:sgprAlpha+2+1], v[vgprValuC+34:vgprValuC+34+1] // 
v_fma_f64 v[vgprValuC+96:vgprValuC+96+1], s[sgprAlpha+2:sgprAlpha+2+1], -v[vgprValuC+74:vgprValuC+74+1], v[84:85]
v_fma_f64 v[vgprValuC+96 +2:vgprValuC+96 +2+1], s[sgprAlpha+0:sgprAlpha+0+1], v[vgprValuC+74:vgprValuC+74+1], v[86:87]

/* apply mask, calc new C and issue writes */
_buffer_store_b128 v[92:95], v88, s[sgprSrdD:sgprSrdD+3], 0, offen, offset:768 // store D
_buffer_store_b128 v[96:99], v88, s[sgprSrdD:sgprSrdD+3], 0, offen, offset:1024 // store D
s_nop 0                                            // 1 wait state required when next inst writes vgprs held by previous dwordx4 store inst
/* optSingleColVgpr=1 optSharedColVgpr=0 optSGPRUsage=BufferLoad_Mask optSrdIncForRow=1 */

/******************************************/
/* Global Write Alpha Batch #5 (d1,d0,vc1,vc0) = */
/*    (2,0,0,0:vw1); (2,1,0,0:vw1)        */
/******************************************/

/* calc coords, apply mask, and issue loads (if necessary) */
/* (d1,vc1,d0,vc0)=(2,0,0,0) */
/* (d1,vc1,d0,vc0)=(2,0,1,0) */

/* rC *= alpha batchElements=[(2, 0, 0, 0), (2, 1, 0, 0)] */
v_mul_f64 v[84:85], s[sgprAlpha+0:sgprAlpha+0+1], v[vgprValuC+4:vgprValuC+4+1] // 
v_mul_f64 v[86:87], s[sgprAlpha+2:sgprAlpha+2+1], v[vgprValuC+4:vgprValuC+4+1] // 
v_fma_f64 v[vgprValuC+92:vgprValuC+92+1], s[sgprAlpha+2:sgprAlpha+2+1], -v[vgprValuC+44:vgprValuC+44+1], v[84:85]
v_fma_f64 v[vgprValuC+92 +2:vgprValuC+92 +2+1], s[sgprAlpha+0:sgprAlpha+0+1], v[vgprValuC+44:vgprValuC+44+1], v[86:87]
v_mul_f64 v[84:85], s[sgprAlpha+0:sgprAlpha+0+1], v[vgprValuC+12:vgprValuC+12+1] // 
v_mul_f64 v[86:87], s[sgprAlpha+2:sgprAlpha+2+1], v[vgprValuC+12:vgprValuC+12+1] // 
v_fma_f64 v[vgprValuC+96:vgprValuC+96+1], s[sgprAlpha+2:sgprAlpha+2+1], -v[vgprValuC+52:vgprValuC+52+1], v[84:85]
v_fma_f64 v[vgprValuC+96 +2:vgprValuC+96 +2+1], s[sgprAlpha+0:sgprAlpha+0+1], v[vgprValuC+52:vgprValuC+52+1], v[86:87]

/* apply mask, calc new C and issue writes */
s_mul_i32 s32, s[sgprStrideD1J], 64                // scale StrideD *= numRows(4) * bpe
s_add_u32  s[sgprSrdD+0], s[sgprSrdD+0], s32       // incToNextRow: gra SRD += inc(lower)
s_addc_u32  s[sgprSrdD+1], s[sgprSrdD+1], 0        // incToNextRow: gra SRD += inc(upper)
_buffer_store_b128 v[92:95], v88, s[sgprSrdD:sgprSrdD+3], 0, offen, offset:0 // store D
_buffer_store_b128 v[96:99], v88, s[sgprSrdD:sgprSrdD+3], 0, offen, offset:256 // store D
s_nop 0                                            // 1 wait state required when next inst writes vgprs held by previous dwordx4 store inst
/* optSingleColVgpr=1 optSharedColVgpr=0 optSGPRUsage=BufferLoad_Mask optSrdIncForRow=1 */

/******************************************/
/* Global Write Alpha Batch #6 (d1,d0,vc1,vc0) = */
/*    (2,2,0,0:vw1); (2,3,0,0:vw1)        */
/******************************************/

/* calc coords, apply mask, and issue loads (if necessary) */
/* (d1,vc1,d0,vc0)=(2,0,2,0) */
/* (d1,vc1,d0,vc0)=(2,0,3,0) */

/* rC *= alpha batchElements=[(2, 2, 0, 0), (2, 3, 0, 0)] */
v_mul_f64 v[84:85], s[sgprAlpha+0:sgprAlpha+0+1], v[vgprValuC+20:vgprValuC+20+1] // 
v_mul_f64 v[86:87], s[sgprAlpha+2:sgprAlpha+2+1], v[vgprValuC+20:vgprValuC+20+1] // 
v_fma_f64 v[vgprValuC+92:vgprValuC+92+1], s[sgprAlpha+2:sgprAlpha+2+1], -v[vgprValuC+60:vgprValuC+60+1], v[84:85]
v_fma_f64 v[vgprValuC+92 +2:vgprValuC+92 +2+1], s[sgprAlpha+0:sgprAlpha+0+1], v[vgprValuC+60:vgprValuC+60+1], v[86:87]
v_mul_f64 v[84:85], s[sgprAlpha+0:sgprAlpha+0+1], v[vgprValuC+28:vgprValuC+28+1] // 
v_mul_f64 v[86:87], s[sgprAlpha+2:sgprAlpha+2+1], v[vgprValuC+28:vgprValuC+28+1] // 
v_fma_f64 v[vgprValuC+96:vgprValuC+96+1], s[sgprAlpha+2:sgprAlpha+2+1], -v[vgprValuC+68:vgprValuC+68+1], v[84:85]
v_fma_f64 v[vgprValuC+96 +2:vgprValuC+96 +2+1], s[sgprAlpha+0:sgprAlpha+0+1], v[vgprValuC+68:vgprValuC+68+1], v[86:87]

/* apply mask, calc new C and issue writes */
_buffer_store_b128 v[92:95], v88, s[sgprSrdD:sgprSrdD+3], 0, offen, offset:512 // store D
_buffer_store_b128 v[96:99], v88, s[sgprSrdD:sgprSrdD+3], 0, offen, offset:768 // store D
s_nop 0                                            // 1 wait state required when next inst writes vgprs held by previous dwordx4 store inst
/* optSingleColVgpr=1 optSharedColVgpr=0 optSGPRUsage=BufferLoad_Mask optSrdIncForRow=1 */

/******************************************/
/* Global Write Alpha Batch #7 (d1,d0,vc1,vc0) = */
/*    (2,4,0,0:vw1); (3,0,0,0:vw1)        */
/******************************************/

/* calc coords, apply mask, and issue loads (if necessary) */
/* (d1,vc1,d0,vc0)=(2,0,4,0) */
/* (d1,vc1,d0,vc0)=(3,0,0,0) */

/* rC *= alpha batchElements=[(2, 4, 0, 0), (3, 0, 0, 0)] */
v_mul_f64 v[84:85], s[sgprAlpha+0:sgprAlpha+0+1], v[vgprValuC+36:vgprValuC+36+1] // 
v_mul_f64 v[86:87], s[sgprAlpha+2:sgprAlpha+2+1], v[vgprValuC+36:vgprValuC+36+1] // 
v_fma_f64 v[vgprValuC+92:vgprValuC+92+1], s[sgprAlpha+2:sgprAlpha+2+1], -v[vgprValuC+76:vgprValuC+76+1], v[84:85]
v_fma_f64 v[vgprValuC+92 +2:vgprValuC+92 +2+1], s[sgprAlpha+0:sgprAlpha+0+1], v[vgprValuC+76:vgprValuC+76+1], v[86:87]
v_mul_f64 v[84:85], s[sgprAlpha+0:sgprAlpha+0+1], v[vgprValuC+6:vgprValuC+6+1] // 
v_mul_f64 v[86:87], s[sgprAlpha+2:sgprAlpha+2+1], v[vgprValuC+6:vgprValuC+6+1] // 
v_fma_f64 v[vgprValuC+96:vgprValuC+96+1], s[sgprAlpha+2:sgprAlpha+2+1], -v[vgprValuC+46:vgprValuC+46+1], v[84:85]
v_fma_f64 v[vgprValuC+96 +2:vgprValuC+96 +2+1], s[sgprAlpha+0:sgprAlpha+0+1], v[vgprValuC+46:vgprValuC+46+1], v[86:87]

/* apply mask, calc new C and issue writes */
_buffer_store_b128 v[92:95], v88, s[sgprSrdD:sgprSrdD+3], 0, offen, offset:1024 // store D
s_mul_i32 s32, s[sgprStrideD1J], 64                // scale StrideD *= numRows(4) * bpe
s_add_u32  s[sgprSrdD+0], s[sgprSrdD+0], s32       // incToNextRow: gra SRD += inc(lower)
s_addc_u32  s[sgprSrdD+1], s[sgprSrdD+1], 0        // incToNextRow: gra SRD += inc(upper)
_buffer_store_b128 v[96:99], v88, s[sgprSrdD:sgprSrdD+3], 0, offen, offset:0 // store D
s_nop 0                                            // 1 wait state required when next inst writes vgprs held by previous dwordx4 store inst
/* optSingleColVgpr=1 optSharedColVgpr=0 optSGPRUsage=BufferLoad_Mask optSrdIncForRow=1 */

/******************************************/
/* Global Write Alpha Batch #8 (d1,d0,vc1,vc0) = */
/*    (3,1,0,0:vw1); (3,2,0,0:vw1)        */
/******************************************/

/* calc coords, apply mask, and issue loads (if necessary) */
/* (d1,vc1,d0,vc0)=(3,0,1,0) */
/* (d1,vc1,d0,vc0)=(3,0,2,0) */

/* rC *= alpha batchElements=[(3, 1, 0, 0), (3, 2, 0, 0)] */
v_mul_f64 v[84:85], s[sgprAlpha+0:sgprAlpha+0+1], v[vgprValuC+14:vgprValuC+14+1] // 
v_mul_f64 v[86:87], s[sgprAlpha+2:sgprAlpha+2+1], v[vgprValuC+14:vgprValuC+14+1] // 
v_fma_f64 v[vgprValuC+92:vgprValuC+92+1], s[sgprAlpha+2:sgprAlpha+2+1], -v[vgprValuC+54:vgprValuC+54+1], v[84:85]
v_fma_f64 v[vgprValuC+92 +2:vgprValuC+92 +2+1], s[sgprAlpha+0:sgprAlpha+0+1], v[vgprValuC+54:vgprValuC+54+1], v[86:87]
v_mul_f64 v[84:85], s[sgprAlpha+0:sgprAlpha+0+1], v[vgprValuC+22:vgprValuC+22+1] // 
v_mul_f64 v[86:87], s[sgprAlpha+2:sgprAlpha+2+1], v[vgprValuC+22:vgprValuC+22+1] // 
v_fma_f64 v[vgprValuC+96:vgprValuC+96+1], s[sgprAlpha+2:sgprAlpha+2+1], -v[vgprValuC+62:vgprValuC+62+1], v[84:85]
v_fma_f64 v[vgprValuC+96 +2:vgprValuC+96 +2+1], s[sgprAlpha+0:sgprAlpha+0+1], v[vgprValuC+62:vgprValuC+62+1], v[86:87]

/* apply mask, calc new C and issue writes */
_buffer_store_b128 v[92:95], v88, s[sgprSrdD:sgprSrdD+3], 0, offen, offset:256 // store D
_buffer_store_b128 v[96:99], v88, s[sgprSrdD:sgprSrdD+3], 0, offen, offset:512 // store D
s_nop 0                                            // 1 wait state required when next inst writes vgprs held by previous dwordx4 store inst
/* optSingleColVgpr=1 optSharedColVgpr=0 optSGPRUsage=BufferLoad_Mask optSrdIncForRow=1 */

/******************************************/
/* Global Write Alpha Batch #9 (d1,d0,vc1,vc0) = */
/*    (3,3,0,0:vw1); (3,4,0,0:vw1)        */
/******************************************/

/* calc coords, apply mask, and issue loads (if necessary) */
/* (d1,vc1,d0,vc0)=(3,0,3,0) */
/* (d1,vc1,d0,vc0)=(3,0,4,0) */

/* rC *= alpha batchElements=[(3, 3, 0, 0), (3, 4, 0, 0)] */
v_mul_f64 v[84:85], s[sgprAlpha+0:sgprAlpha+0+1], v[vgprValuC+30:vgprValuC+30+1] // 
v_mul_f64 v[86:87], s[sgprAlpha+2:sgprAlpha+2+1], v[vgprValuC+30:vgprValuC+30+1] // 
v_fma_f64 v[vgprValuC+92:vgprValuC+92+1], s[sgprAlpha+2:sgprAlpha+2+1], -v[vgprValuC+70:vgprValuC+70+1], v[84:85]
v_fma_f64 v[vgprValuC+92 +2:vgprValuC+92 +2+1], s[sgprAlpha+0:sgprAlpha+0+1], v[vgprValuC+70:vgprValuC+70+1], v[86:87]
v_mul_f64 v[84:85], s[sgprAlpha+0:sgprAlpha+0+1], v[vgprValuC+38:vgprValuC+38+1] // 
v_mul_f64 v[86:87], s[sgprAlpha+2:sgprAlpha+2+1], v[vgprValuC+38:vgprValuC+38+1] // 
v_fma_f64 v[vgprValuC+96:vgprValuC+96+1], s[sgprAlpha+2:sgprAlpha+2+1], -v[vgprValuC+78:vgprValuC+78+1], v[84:85]
v_fma_f64 v[vgprValuC+96 +2:vgprValuC+96 +2+1], s[sgprAlpha+0:sgprAlpha+0+1], v[vgprValuC+78:vgprValuC+78+1], v[86:87]

/* apply mask, calc new C and issue writes */
_buffer_store_b128 v[92:95], v88, s[sgprSrdD:sgprSrdD+3], 0, offen, offset:768 // store D
_buffer_store_b128 v[96:99], v88, s[sgprSrdD:sgprSrdD+3], 0, offen, offset:1024 // store D
s_nop 0                                            // 1 wait state required when next inst writes vgprs held by previous dwordx4 store inst
s_branch label_GW_End_54                           // jump to end
GW_B0_E1_46:

/* edge=1, allocate 6 sgpr. perBatchTmpS=4 perBatchMaskS=2 perElementMaskS=0 elementsPerBatch=2 */
/* optSingleColVgpr=0 optSharedColVgpr=0 optSGPRUsage=BufferLoad_Edge_Mask optSrdIncForRow=0 */

/******************************************/
/* Global Write Alpha Edge Batch #0 (d1,d0,vc1,vc0) = */
/*    (0,0,0,0:vw1); (0,1,0,0:vw1)        */
/******************************************/

/* calc coords, apply mask, and issue loads (if necessary) */
/* (d1,vc1,d0,vc0)=(0,0,0,0) */
v_cmp_lt_u32 s[58:59], v80, s[sgprSizeI]           // coord0 < size0
v_cmp_lt_u32 s[62:63], v81, s[sgprSizeJ]           // coord1 < size1
s_and_b64 s[62:63], s[58:59], s[62:63]             // in0 && in1
_v_add_lshl_u32 v88, v83, v80, 0x4                 // scaleToBpe: accumulate d0 lower and *= bpe into Cin addr
v_cndmask_b32 v88, -1, v88, s[62:63]               // LDD clip if OOB. offset
/* (d1,vc1,d0,vc0)=(0,0,1,0) */
_v_add_co_u32 v84, vcc, v80, 16                    // coord0.1: coord0 += d0*sg0*VW + vc0
v_cmp_lt_u32 s[58:59], v84, s[sgprSizeI]           // coord0 < size0
v_cmp_lt_u32 s[62:63], v81, s[sgprSizeJ]           // coord1 < size1
s_and_b64 s[62:63], s[58:59], s[62:63]             // in0 && in1
_v_add_lshl_u32 v89, v83, v84, 0x4                 // scaleToBpe: accumulate d0 lower and *= bpe into Cin addr
v_cndmask_b32 v89, -1, v89, s[62:63]               // LDD clip if OOB. offset

/* rC *= alpha batchElements=[(0, 0, 0, 0), (0, 1, 0, 0)] */
v_mul_f64 v[84:85], s[sgprAlpha+0:sgprAlpha+0+1], v[vgprValuC+0:vgprValuC+0+1] // 
v_mul_f64 v[86:87], s[sgprAlpha+2:sgprAlpha+2+1], v[vgprValuC+0:vgprValuC+0+1] // 
v_fma_f64 v[vgprValuC+92:vgprValuC+92+1], s[sgprAlpha+2:sgprAlpha+2+1], -v[vgprValuC+40:vgprValuC+40+1], v[84:85]
v_fma_f64 v[vgprValuC+92 +2:vgprValuC+92 +2+1], s[sgprAlpha+0:sgprAlpha+0+1], v[vgprValuC+40:vgprValuC+40+1], v[86:87]
v_mul_f64 v[84:85], s[sgprAlpha+0:sgprAlpha+0+1], v[vgprValuC+8:vgprValuC+8+1] // 
v_mul_f64 v[86:87], s[sgprAlpha+2:sgprAlpha+2+1], v[vgprValuC+8:vgprValuC+8+1] // 
v_fma_f64 v[vgprValuC+96:vgprValuC+96+1], s[sgprAlpha+2:sgprAlpha+2+1], -v[vgprValuC+48:vgprValuC+48+1], v[84:85]
v_fma_f64 v[vgprValuC+96 +2:vgprValuC+96 +2+1], s[sgprAlpha+0:sgprAlpha+0+1], v[vgprValuC+48:vgprValuC+48+1], v[86:87]

/* apply mask, calc new C and issue writes */
_buffer_store_b128 v[92:95], v88, s[sgprSrdD:sgprSrdD+3], 0, offen, offset:0 // store D
_buffer_store_b128 v[96:99], v89, s[sgprSrdD:sgprSrdD+3], 0, offen, offset:0 // store D
s_nop 0                                            // 1 wait state required when next inst writes vgprs held by previous dwordx4 store inst
/* optSingleColVgpr=0 optSharedColVgpr=0 optSGPRUsage=BufferLoad_Edge_Mask optSrdIncForRow=0 */

/******************************************/
/* Global Write Alpha Edge Batch #1 (d1,d0,vc1,vc0) = */
/*    (0,2,0,0:vw1); (0,3,0,0:vw1)        */
/******************************************/

/* calc coords, apply mask, and issue loads (if necessary) */
/* (d1,vc1,d0,vc0)=(0,0,2,0) */
_v_add_co_u32 v84, vcc, v80, 32                    // coord0.1: coord0 += d0*sg0*VW + vc0
v_cmp_lt_u32 s[58:59], v84, s[sgprSizeI]           // coord0 < size0
v_cmp_lt_u32 s[62:63], v81, s[sgprSizeJ]           // coord1 < size1
s_and_b64 s[62:63], s[58:59], s[62:63]             // in0 && in1
_v_add_lshl_u32 v88, v83, v84, 0x4                 // scaleToBpe: accumulate d0 lower and *= bpe into Cin addr
v_cndmask_b32 v88, -1, v88, s[62:63]               // LDD clip if OOB. offset
/* (d1,vc1,d0,vc0)=(0,0,3,0) */
_v_add_co_u32 v84, vcc, v80, 48                    // coord0.1: coord0 += d0*sg0*VW + vc0
v_cmp_lt_u32 s[58:59], v84, s[sgprSizeI]           // coord0 < size0
v_cmp_lt_u32 s[62:63], v81, s[sgprSizeJ]           // coord1 < size1
s_and_b64 s[62:63], s[58:59], s[62:63]             // in0 && in1
_v_add_lshl_u32 v89, v83, v84, 0x4                 // scaleToBpe: accumulate d0 lower and *= bpe into Cin addr
v_cndmask_b32 v89, -1, v89, s[62:63]               // LDD clip if OOB. offset

/* rC *= alpha batchElements=[(0, 2, 0, 0), (0, 3, 0, 0)] */
v_mul_f64 v[84:85], s[sgprAlpha+0:sgprAlpha+0+1], v[vgprValuC+16:vgprValuC+16+1] // 
v_mul_f64 v[86:87], s[sgprAlpha+2:sgprAlpha+2+1], v[vgprValuC+16:vgprValuC+16+1] // 
v_fma_f64 v[vgprValuC+92:vgprValuC+92+1], s[sgprAlpha+2:sgprAlpha+2+1], -v[vgprValuC+56:vgprValuC+56+1], v[84:85]
v_fma_f64 v[vgprValuC+92 +2:vgprValuC+92 +2+1], s[sgprAlpha+0:sgprAlpha+0+1], v[vgprValuC+56:vgprValuC+56+1], v[86:87]
v_mul_f64 v[84:85], s[sgprAlpha+0:sgprAlpha+0+1], v[vgprValuC+24:vgprValuC+24+1] // 
v_mul_f64 v[86:87], s[sgprAlpha+2:sgprAlpha+2+1], v[vgprValuC+24:vgprValuC+24+1] // 
v_fma_f64 v[vgprValuC+96:vgprValuC+96+1], s[sgprAlpha+2:sgprAlpha+2+1], -v[vgprValuC+64:vgprValuC+64+1], v[84:85]
v_fma_f64 v[vgprValuC+96 +2:vgprValuC+96 +2+1], s[sgprAlpha+0:sgprAlpha+0+1], v[vgprValuC+64:vgprValuC+64+1], v[86:87]

/* apply mask, calc new C and issue writes */
_buffer_store_b128 v[92:95], v88, s[sgprSrdD:sgprSrdD+3], 0, offen, offset:0 // store D
_buffer_store_b128 v[96:99], v89, s[sgprSrdD:sgprSrdD+3], 0, offen, offset:0 // store D
s_nop 0                                            // 1 wait state required when next inst writes vgprs held by previous dwordx4 store inst
/* optSingleColVgpr=0 optSharedColVgpr=0 optSGPRUsage=BufferLoad_Edge_Mask optSrdIncForRow=0 */

/******************************************/
/* Global Write Alpha Edge Batch #2 (d1,d0,vc1,vc0) = */
/*    (0,4,0,0:vw1); (1,0,0,0:vw1)        */
/******************************************/

/* calc coords, apply mask, and issue loads (if necessary) */
/* (d1,vc1,d0,vc0)=(0,0,4,0) */
_v_add_co_u32 v84, vcc, v80, 64                    // coord0.1: coord0 += d0*sg0*VW + vc0
v_cmp_lt_u32 s[58:59], v84, s[sgprSizeI]           // coord0 < size0
v_cmp_lt_u32 s[62:63], v81, s[sgprSizeJ]           // coord1 < size1
s_and_b64 s[62:63], s[58:59], s[62:63]             // in0 && in1
_v_add_lshl_u32 v88, v83, v84, 0x4                 // scaleToBpe: accumulate d0 lower and *= bpe into Cin addr
v_cndmask_b32 v88, -1, v88, s[62:63]               // LDD clip if OOB. offset
/* (d1,vc1,d0,vc0)=(1,0,0,0) */
_v_add_co_u32 v81, vcc, v81, 4                     // coord1.1: coord1Vgpr += d1*sg1*VW + vc1

/* Fix for UseInitialStridesCD, emitAddressSetupCode */
s_mul_i32 s58, s[sgprStrideC1J], 4                 // scale stride
_v_add_u32 v82, v82, s58                           // ROWINC- Move cinRowPtr to next row
s_mul_i32 s58, s[sgprStrideD1J], 4                 // scale stride
_v_add_u32 v83, v83, s58                           // Move coutRowPtr to next row
v_cmp_lt_u32 s[58:59], v80, s[sgprSizeI]           // coord0 < size0
v_cmp_lt_u32 s[62:63], v81, s[sgprSizeJ]           // coord1 < size1
s_and_b64 s[62:63], s[58:59], s[62:63]             // in0 && in1
_v_add_lshl_u32 v89, v83, v80, 0x4                 // scaleToBpe: accumulate d0 lower and *= bpe into Cin addr
v_cndmask_b32 v89, -1, v89, s[62:63]               // LDD clip if OOB. offset

/* rC *= alpha batchElements=[(0, 4, 0, 0), (1, 0, 0, 0)] */
v_mul_f64 v[84:85], s[sgprAlpha+0:sgprAlpha+0+1], v[vgprValuC+32:vgprValuC+32+1] // 
v_mul_f64 v[86:87], s[sgprAlpha+2:sgprAlpha+2+1], v[vgprValuC+32:vgprValuC+32+1] // 
v_fma_f64 v[vgprValuC+92:vgprValuC+92+1], s[sgprAlpha+2:sgprAlpha+2+1], -v[vgprValuC+72:vgprValuC+72+1], v[84:85]
v_fma_f64 v[vgprValuC+92 +2:vgprValuC+92 +2+1], s[sgprAlpha+0:sgprAlpha+0+1], v[vgprValuC+72:vgprValuC+72+1], v[86:87]
v_mul_f64 v[84:85], s[sgprAlpha+0:sgprAlpha+0+1], v[vgprValuC+2:vgprValuC+2+1] // 
v_mul_f64 v[86:87], s[sgprAlpha+2:sgprAlpha+2+1], v[vgprValuC+2:vgprValuC+2+1] // 
v_fma_f64 v[vgprValuC+96:vgprValuC+96+1], s[sgprAlpha+2:sgprAlpha+2+1], -v[vgprValuC+42:vgprValuC+42+1], v[84:85]
v_fma_f64 v[vgprValuC+96 +2:vgprValuC+96 +2+1], s[sgprAlpha+0:sgprAlpha+0+1], v[vgprValuC+42:vgprValuC+42+1], v[86:87]

/* apply mask, calc new C and issue writes */
_buffer_store_b128 v[92:95], v88, s[sgprSrdD:sgprSrdD+3], 0, offen, offset:0 // store D
_buffer_store_b128 v[96:99], v89, s[sgprSrdD:sgprSrdD+3], 0, offen, offset:0 // store D
s_nop 0                                            // 1 wait state required when next inst writes vgprs held by previous dwordx4 store inst
/* optSingleColVgpr=0 optSharedColVgpr=0 optSGPRUsage=BufferLoad_Edge_Mask optSrdIncForRow=0 */

/******************************************/
/* Global Write Alpha Edge Batch #3 (d1,d0,vc1,vc0) = */
/*    (1,1,0,0:vw1); (1,2,0,0:vw1)        */
/******************************************/

/* calc coords, apply mask, and issue loads (if necessary) */
/* (d1,vc1,d0,vc0)=(1,0,1,0) */
_v_add_co_u32 v84, vcc, v80, 16                    // coord0.1: coord0 += d0*sg0*VW + vc0
v_cmp_lt_u32 s[58:59], v84, s[sgprSizeI]           // coord0 < size0
v_cmp_lt_u32 s[62:63], v81, s[sgprSizeJ]           // coord1 < size1
s_and_b64 s[62:63], s[58:59], s[62:63]             // in0 && in1
_v_add_lshl_u32 v88, v83, v84, 0x4                 // scaleToBpe: accumulate d0 lower and *= bpe into Cin addr
v_cndmask_b32 v88, -1, v88, s[62:63]               // LDD clip if OOB. offset
/* (d1,vc1,d0,vc0)=(1,0,2,0) */
_v_add_co_u32 v84, vcc, v80, 32                    // coord0.1: coord0 += d0*sg0*VW + vc0
v_cmp_lt_u32 s[58:59], v84, s[sgprSizeI]           // coord0 < size0
v_cmp_lt_u32 s[62:63], v81, s[sgprSizeJ]           // coord1 < size1
s_and_b64 s[62:63], s[58:59], s[62:63]             // in0 && in1
_v_add_lshl_u32 v89, v83, v84, 0x4                 // scaleToBpe: accumulate d0 lower and *= bpe into Cin addr
v_cndmask_b32 v89, -1, v89, s[62:63]               // LDD clip if OOB. offset

/* rC *= alpha batchElements=[(1, 1, 0, 0), (1, 2, 0, 0)] */
v_mul_f64 v[84:85], s[sgprAlpha+0:sgprAlpha+0+1], v[vgprValuC+10:vgprValuC+10+1] // 
v_mul_f64 v[86:87], s[sgprAlpha+2:sgprAlpha+2+1], v[vgprValuC+10:vgprValuC+10+1] // 
v_fma_f64 v[vgprValuC+92:vgprValuC+92+1], s[sgprAlpha+2:sgprAlpha+2+1], -v[vgprValuC+50:vgprValuC+50+1], v[84:85]
v_fma_f64 v[vgprValuC+92 +2:vgprValuC+92 +2+1], s[sgprAlpha+0:sgprAlpha+0+1], v[vgprValuC+50:vgprValuC+50+1], v[86:87]
v_mul_f64 v[84:85], s[sgprAlpha+0:sgprAlpha+0+1], v[vgprValuC+18:vgprValuC+18+1] // 
v_mul_f64 v[86:87], s[sgprAlpha+2:sgprAlpha+2+1], v[vgprValuC+18:vgprValuC+18+1] // 
v_fma_f64 v[vgprValuC+96:vgprValuC+96+1], s[sgprAlpha+2:sgprAlpha+2+1], -v[vgprValuC+58:vgprValuC+58+1], v[84:85]
v_fma_f64 v[vgprValuC+96 +2:vgprValuC+96 +2+1], s[sgprAlpha+0:sgprAlpha+0+1], v[vgprValuC+58:vgprValuC+58+1], v[86:87]

/* apply mask, calc new C and issue writes */
_buffer_store_b128 v[92:95], v88, s[sgprSrdD:sgprSrdD+3], 0, offen, offset:0 // store D
_buffer_store_b128 v[96:99], v89, s[sgprSrdD:sgprSrdD+3], 0, offen, offset:0 // store D
s_nop 0                                            // 1 wait state required when next inst writes vgprs held by previous dwordx4 store inst
/* optSingleColVgpr=0 optSharedColVgpr=0 optSGPRUsage=BufferLoad_Edge_Mask optSrdIncForRow=0 */

/******************************************/
/* Global Write Alpha Edge Batch #4 (d1,d0,vc1,vc0) = */
/*    (1,3,0,0:vw1); (1,4,0,0:vw1)        */
/******************************************/

/* calc coords, apply mask, and issue loads (if necessary) */
/* (d1,vc1,d0,vc0)=(1,0,3,0) */
_v_add_co_u32 v84, vcc, v80, 48                    // coord0.1: coord0 += d0*sg0*VW + vc0
v_cmp_lt_u32 s[58:59], v84, s[sgprSizeI]           // coord0 < size0
v_cmp_lt_u32 s[62:63], v81, s[sgprSizeJ]           // coord1 < size1
s_and_b64 s[62:63], s[58:59], s[62:63]             // in0 && in1
_v_add_lshl_u32 v88, v83, v84, 0x4                 // scaleToBpe: accumulate d0 lower and *= bpe into Cin addr
v_cndmask_b32 v88, -1, v88, s[62:63]               // LDD clip if OOB. offset
/* (d1,vc1,d0,vc0)=(1,0,4,0) */
_v_add_co_u32 v84, vcc, v80, 64                    // coord0.1: coord0 += d0*sg0*VW + vc0
v_cmp_lt_u32 s[58:59], v84, s[sgprSizeI]           // coord0 < size0
v_cmp_lt_u32 s[62:63], v81, s[sgprSizeJ]           // coord1 < size1
s_and_b64 s[62:63], s[58:59], s[62:63]             // in0 && in1
_v_add_lshl_u32 v89, v83, v84, 0x4                 // scaleToBpe: accumulate d0 lower and *= bpe into Cin addr
v_cndmask_b32 v89, -1, v89, s[62:63]               // LDD clip if OOB. offset

/* rC *= alpha batchElements=[(1, 3, 0, 0), (1, 4, 0, 0)] */
v_mul_f64 v[84:85], s[sgprAlpha+0:sgprAlpha+0+1], v[vgprValuC+26:vgprValuC+26+1] // 
v_mul_f64 v[86:87], s[sgprAlpha+2:sgprAlpha+2+1], v[vgprValuC+26:vgprValuC+26+1] // 
v_fma_f64 v[vgprValuC+92:vgprValuC+92+1], s[sgprAlpha+2:sgprAlpha+2+1], -v[vgprValuC+66:vgprValuC+66+1], v[84:85]
v_fma_f64 v[vgprValuC+92 +2:vgprValuC+92 +2+1], s[sgprAlpha+0:sgprAlpha+0+1], v[vgprValuC+66:vgprValuC+66+1], v[86:87]
v_mul_f64 v[84:85], s[sgprAlpha+0:sgprAlpha+0+1], v[vgprValuC+34:vgprValuC+34+1] // 
v_mul_f64 v[86:87], s[sgprAlpha+2:sgprAlpha+2+1], v[vgprValuC+34:vgprValuC+34+1] // 
v_fma_f64 v[vgprValuC+96:vgprValuC+96+1], s[sgprAlpha+2:sgprAlpha+2+1], -v[vgprValuC+74:vgprValuC+74+1], v[84:85]
v_fma_f64 v[vgprValuC+96 +2:vgprValuC+96 +2+1], s[sgprAlpha+0:sgprAlpha+0+1], v[vgprValuC+74:vgprValuC+74+1], v[86:87]

/* apply mask, calc new C and issue writes */
_buffer_store_b128 v[92:95], v88, s[sgprSrdD:sgprSrdD+3], 0, offen, offset:0 // store D
_buffer_store_b128 v[96:99], v89, s[sgprSrdD:sgprSrdD+3], 0, offen, offset:0 // store D
s_nop 0                                            // 1 wait state required when next inst writes vgprs held by previous dwordx4 store inst
/* optSingleColVgpr=0 optSharedColVgpr=0 optSGPRUsage=BufferLoad_Edge_Mask optSrdIncForRow=0 */

/******************************************/
/* Global Write Alpha Edge Batch #5 (d1,d0,vc1,vc0) = */
/*    (2,0,0,0:vw1); (2,1,0,0:vw1)        */
/******************************************/

/* calc coords, apply mask, and issue loads (if necessary) */
/* (d1,vc1,d0,vc0)=(2,0,0,0) */
_v_add_co_u32 v81, vcc, v81, 4                     // coord1.1: coord1Vgpr += d1*sg1*VW + vc1

/* Fix for UseInitialStridesCD, emitAddressSetupCode */
s_mul_i32 s58, s[sgprStrideC1J], 4                 // scale stride
_v_add_u32 v82, v82, s58                           // ROWINC- Move cinRowPtr to next row
s_mul_i32 s58, s[sgprStrideD1J], 4                 // scale stride
_v_add_u32 v83, v83, s58                           // Move coutRowPtr to next row
v_cmp_lt_u32 s[58:59], v80, s[sgprSizeI]           // coord0 < size0
v_cmp_lt_u32 s[62:63], v81, s[sgprSizeJ]           // coord1 < size1
s_and_b64 s[62:63], s[58:59], s[62:63]             // in0 && in1
_v_add_lshl_u32 v88, v83, v80, 0x4                 // scaleToBpe: accumulate d0 lower and *= bpe into Cin addr
v_cndmask_b32 v88, -1, v88, s[62:63]               // LDD clip if OOB. offset
/* (d1,vc1,d0,vc0)=(2,0,1,0) */
_v_add_co_u32 v84, vcc, v80, 16                    // coord0.1: coord0 += d0*sg0*VW + vc0
v_cmp_lt_u32 s[58:59], v84, s[sgprSizeI]           // coord0 < size0
v_cmp_lt_u32 s[62:63], v81, s[sgprSizeJ]           // coord1 < size1
s_and_b64 s[62:63], s[58:59], s[62:63]             // in0 && in1
_v_add_lshl_u32 v89, v83, v84, 0x4                 // scaleToBpe: accumulate d0 lower and *= bpe into Cin addr
v_cndmask_b32 v89, -1, v89, s[62:63]               // LDD clip if OOB. offset

/* rC *= alpha batchElements=[(2, 0, 0, 0), (2, 1, 0, 0)] */
v_mul_f64 v[84:85], s[sgprAlpha+0:sgprAlpha+0+1], v[vgprValuC+4:vgprValuC+4+1] // 
v_mul_f64 v[86:87], s[sgprAlpha+2:sgprAlpha+2+1], v[vgprValuC+4:vgprValuC+4+1] // 
v_fma_f64 v[vgprValuC+92:vgprValuC+92+1], s[sgprAlpha+2:sgprAlpha+2+1], -v[vgprValuC+44:vgprValuC+44+1], v[84:85]
v_fma_f64 v[vgprValuC+92 +2:vgprValuC+92 +2+1], s[sgprAlpha+0:sgprAlpha+0+1], v[vgprValuC+44:vgprValuC+44+1], v[86:87]
v_mul_f64 v[84:85], s[sgprAlpha+0:sgprAlpha+0+1], v[vgprValuC+12:vgprValuC+12+1] // 
v_mul_f64 v[86:87], s[sgprAlpha+2:sgprAlpha+2+1], v[vgprValuC+12:vgprValuC+12+1] // 
v_fma_f64 v[vgprValuC+96:vgprValuC+96+1], s[sgprAlpha+2:sgprAlpha+2+1], -v[vgprValuC+52:vgprValuC+52+1], v[84:85]
v_fma_f64 v[vgprValuC+96 +2:vgprValuC+96 +2+1], s[sgprAlpha+0:sgprAlpha+0+1], v[vgprValuC+52:vgprValuC+52+1], v[86:87]

/* apply mask, calc new C and issue writes */
_buffer_store_b128 v[92:95], v88, s[sgprSrdD:sgprSrdD+3], 0, offen, offset:0 // store D
_buffer_store_b128 v[96:99], v89, s[sgprSrdD:sgprSrdD+3], 0, offen, offset:0 // store D
s_nop 0                                            // 1 wait state required when next inst writes vgprs held by previous dwordx4 store inst
/* optSingleColVgpr=0 optSharedColVgpr=0 optSGPRUsage=BufferLoad_Edge_Mask optSrdIncForRow=0 */

/******************************************/
/* Global Write Alpha Edge Batch #6 (d1,d0,vc1,vc0) = */
/*    (2,2,0,0:vw1); (2,3,0,0:vw1)        */
/******************************************/

/* calc coords, apply mask, and issue loads (if necessary) */
/* (d1,vc1,d0,vc0)=(2,0,2,0) */
_v_add_co_u32 v84, vcc, v80, 32                    // coord0.1: coord0 += d0*sg0*VW + vc0
v_cmp_lt_u32 s[58:59], v84, s[sgprSizeI]           // coord0 < size0
v_cmp_lt_u32 s[62:63], v81, s[sgprSizeJ]           // coord1 < size1
s_and_b64 s[62:63], s[58:59], s[62:63]             // in0 && in1
_v_add_lshl_u32 v88, v83, v84, 0x4                 // scaleToBpe: accumulate d0 lower and *= bpe into Cin addr
v_cndmask_b32 v88, -1, v88, s[62:63]               // LDD clip if OOB. offset
/* (d1,vc1,d0,vc0)=(2,0,3,0) */
_v_add_co_u32 v84, vcc, v80, 48                    // coord0.1: coord0 += d0*sg0*VW + vc0
v_cmp_lt_u32 s[58:59], v84, s[sgprSizeI]           // coord0 < size0
v_cmp_lt_u32 s[62:63], v81, s[sgprSizeJ]           // coord1 < size1
s_and_b64 s[62:63], s[58:59], s[62:63]             // in0 && in1
_v_add_lshl_u32 v89, v83, v84, 0x4                 // scaleToBpe: accumulate d0 lower and *= bpe into Cin addr
v_cndmask_b32 v89, -1, v89, s[62:63]               // LDD clip if OOB. offset

/* rC *= alpha batchElements=[(2, 2, 0, 0), (2, 3, 0, 0)] */
v_mul_f64 v[84:85], s[sgprAlpha+0:sgprAlpha+0+1], v[vgprValuC+20:vgprValuC+20+1] // 
v_mul_f64 v[86:87], s[sgprAlpha+2:sgprAlpha+2+1], v[vgprValuC+20:vgprValuC+20+1] // 
v_fma_f64 v[vgprValuC+92:vgprValuC+92+1], s[sgprAlpha+2:sgprAlpha+2+1], -v[vgprValuC+60:vgprValuC+60+1], v[84:85]
v_fma_f64 v[vgprValuC+92 +2:vgprValuC+92 +2+1], s[sgprAlpha+0:sgprAlpha+0+1], v[vgprValuC+60:vgprValuC+60+1], v[86:87]
v_mul_f64 v[84:85], s[sgprAlpha+0:sgprAlpha+0+1], v[vgprValuC+28:vgprValuC+28+1] // 
v_mul_f64 v[86:87], s[sgprAlpha+2:sgprAlpha+2+1], v[vgprValuC+28:vgprValuC+28+1] // 
v_fma_f64 v[vgprValuC+96:vgprValuC+96+1], s[sgprAlpha+2:sgprAlpha+2+1], -v[vgprValuC+68:vgprValuC+68+1], v[84:85]
v_fma_f64 v[vgprValuC+96 +2:vgprValuC+96 +2+1], s[sgprAlpha+0:sgprAlpha+0+1], v[vgprValuC+68:vgprValuC+68+1], v[86:87]

/* apply mask, calc new C and issue writes */
_buffer_store_b128 v[92:95], v88, s[sgprSrdD:sgprSrdD+3], 0, offen, offset:0 // store D
_buffer_store_b128 v[96:99], v89, s[sgprSrdD:sgprSrdD+3], 0, offen, offset:0 // store D
s_nop 0                                            // 1 wait state required when next inst writes vgprs held by previous dwordx4 store inst
/* optSingleColVgpr=0 optSharedColVgpr=0 optSGPRUsage=BufferLoad_Edge_Mask optSrdIncForRow=0 */

/******************************************/
/* Global Write Alpha Edge Batch #7 (d1,d0,vc1,vc0) = */
/*    (2,4,0,0:vw1); (3,0,0,0:vw1)        */
/******************************************/

/* calc coords, apply mask, and issue loads (if necessary) */
/* (d1,vc1,d0,vc0)=(2,0,4,0) */
_v_add_co_u32 v84, vcc, v80, 64                    // coord0.1: coord0 += d0*sg0*VW + vc0
v_cmp_lt_u32 s[58:59], v84, s[sgprSizeI]           // coord0 < size0
v_cmp_lt_u32 s[62:63], v81, s[sgprSizeJ]           // coord1 < size1
s_and_b64 s[62:63], s[58:59], s[62:63]             // in0 && in1
_v_add_lshl_u32 v88, v83, v84, 0x4                 // scaleToBpe: accumulate d0 lower and *= bpe into Cin addr
v_cndmask_b32 v88, -1, v88, s[62:63]               // LDD clip if OOB. offset
/* (d1,vc1,d0,vc0)=(3,0,0,0) */
_v_add_co_u32 v81, vcc, v81, 4                     // coord1.1: coord1Vgpr += d1*sg1*VW + vc1

/* Fix for UseInitialStridesCD, emitAddressSetupCode */
s_mul_i32 s58, s[sgprStrideC1J], 4                 // scale stride
_v_add_u32 v82, v82, s58                           // ROWINC- Move cinRowPtr to next row
s_mul_i32 s58, s[sgprStrideD1J], 4                 // scale stride
_v_add_u32 v83, v83, s58                           // Move coutRowPtr to next row
v_cmp_lt_u32 s[58:59], v80, s[sgprSizeI]           // coord0 < size0
v_cmp_lt_u32 s[62:63], v81, s[sgprSizeJ]           // coord1 < size1
s_and_b64 s[62:63], s[58:59], s[62:63]             // in0 && in1
_v_add_lshl_u32 v89, v83, v80, 0x4                 // scaleToBpe: accumulate d0 lower and *= bpe into Cin addr
v_cndmask_b32 v89, -1, v89, s[62:63]               // LDD clip if OOB. offset

/* rC *= alpha batchElements=[(2, 4, 0, 0), (3, 0, 0, 0)] */
v_mul_f64 v[84:85], s[sgprAlpha+0:sgprAlpha+0+1], v[vgprValuC+36:vgprValuC+36+1] // 
v_mul_f64 v[86:87], s[sgprAlpha+2:sgprAlpha+2+1], v[vgprValuC+36:vgprValuC+36+1] // 
v_fma_f64 v[vgprValuC+92:vgprValuC+92+1], s[sgprAlpha+2:sgprAlpha+2+1], -v[vgprValuC+76:vgprValuC+76+1], v[84:85]
v_fma_f64 v[vgprValuC+92 +2:vgprValuC+92 +2+1], s[sgprAlpha+0:sgprAlpha+0+1], v[vgprValuC+76:vgprValuC+76+1], v[86:87]
v_mul_f64 v[84:85], s[sgprAlpha+0:sgprAlpha+0+1], v[vgprValuC+6:vgprValuC+6+1] // 
v_mul_f64 v[86:87], s[sgprAlpha+2:sgprAlpha+2+1], v[vgprValuC+6:vgprValuC+6+1] // 
v_fma_f64 v[vgprValuC+96:vgprValuC+96+1], s[sgprAlpha+2:sgprAlpha+2+1], -v[vgprValuC+46:vgprValuC+46+1], v[84:85]
v_fma_f64 v[vgprValuC+96 +2:vgprValuC+96 +2+1], s[sgprAlpha+0:sgprAlpha+0+1], v[vgprValuC+46:vgprValuC+46+1], v[86:87]

/* apply mask, calc new C and issue writes */
_buffer_store_b128 v[92:95], v88, s[sgprSrdD:sgprSrdD+3], 0, offen, offset:0 // store D
_buffer_store_b128 v[96:99], v89, s[sgprSrdD:sgprSrdD+3], 0, offen, offset:0 // store D
s_nop 0                                            // 1 wait state required when next inst writes vgprs held by previous dwordx4 store inst
/* optSingleColVgpr=0 optSharedColVgpr=0 optSGPRUsage=BufferLoad_Edge_Mask optSrdIncForRow=0 */

/******************************************/
/* Global Write Alpha Edge Batch #8 (d1,d0,vc1,vc0) = */
/*    (3,1,0,0:vw1); (3,2,0,0:vw1)        */
/******************************************/

/* calc coords, apply mask, and issue loads (if necessary) */
/* (d1,vc1,d0,vc0)=(3,0,1,0) */
_v_add_co_u32 v84, vcc, v80, 16                    // coord0.1: coord0 += d0*sg0*VW + vc0
v_cmp_lt_u32 s[58:59], v84, s[sgprSizeI]           // coord0 < size0
v_cmp_lt_u32 s[62:63], v81, s[sgprSizeJ]           // coord1 < size1
s_and_b64 s[62:63], s[58:59], s[62:63]             // in0 && in1
_v_add_lshl_u32 v88, v83, v84, 0x4                 // scaleToBpe: accumulate d0 lower and *= bpe into Cin addr
v_cndmask_b32 v88, -1, v88, s[62:63]               // LDD clip if OOB. offset
/* (d1,vc1,d0,vc0)=(3,0,2,0) */
_v_add_co_u32 v84, vcc, v80, 32                    // coord0.1: coord0 += d0*sg0*VW + vc0
v_cmp_lt_u32 s[58:59], v84, s[sgprSizeI]           // coord0 < size0
v_cmp_lt_u32 s[62:63], v81, s[sgprSizeJ]           // coord1 < size1
s_and_b64 s[62:63], s[58:59], s[62:63]             // in0 && in1
_v_add_lshl_u32 v89, v83, v84, 0x4                 // scaleToBpe: accumulate d0 lower and *= bpe into Cin addr
v_cndmask_b32 v89, -1, v89, s[62:63]               // LDD clip if OOB. offset

/* rC *= alpha batchElements=[(3, 1, 0, 0), (3, 2, 0, 0)] */
v_mul_f64 v[84:85], s[sgprAlpha+0:sgprAlpha+0+1], v[vgprValuC+14:vgprValuC+14+1] // 
v_mul_f64 v[86:87], s[sgprAlpha+2:sgprAlpha+2+1], v[vgprValuC+14:vgprValuC+14+1] // 
v_fma_f64 v[vgprValuC+92:vgprValuC+92+1], s[sgprAlpha+2:sgprAlpha+2+1], -v[vgprValuC+54:vgprValuC+54+1], v[84:85]
v_fma_f64 v[vgprValuC+92 +2:vgprValuC+92 +2+1], s[sgprAlpha+0:sgprAlpha+0+1], v[vgprValuC+54:vgprValuC+54+1], v[86:87]
v_mul_f64 v[84:85], s[sgprAlpha+0:sgprAlpha+0+1], v[vgprValuC+22:vgprValuC+22+1] // 
v_mul_f64 v[86:87], s[sgprAlpha+2:sgprAlpha+2+1], v[vgprValuC+22:vgprValuC+22+1] // 
v_fma_f64 v[vgprValuC+96:vgprValuC+96+1], s[sgprAlpha+2:sgprAlpha+2+1], -v[vgprValuC+62:vgprValuC+62+1], v[84:85]
v_fma_f64 v[vgprValuC+96 +2:vgprValuC+96 +2+1], s[sgprAlpha+0:sgprAlpha+0+1], v[vgprValuC+62:vgprValuC+62+1], v[86:87]

/* apply mask, calc new C and issue writes */
_buffer_store_b128 v[92:95], v88, s[sgprSrdD:sgprSrdD+3], 0, offen, offset:0 // store D
_buffer_store_b128 v[96:99], v89, s[sgprSrdD:sgprSrdD+3], 0, offen, offset:0 // store D
s_nop 0                                            // 1 wait state required when next inst writes vgprs held by previous dwordx4 store inst
/* optSingleColVgpr=0 optSharedColVgpr=0 optSGPRUsage=BufferLoad_Edge_Mask optSrdIncForRow=0 */

/******************************************/
/* Global Write Alpha Edge Batch #9 (d1,d0,vc1,vc0) = */
/*    (3,3,0,0:vw1); (3,4,0,0:vw1)        */
/******************************************/

/* calc coords, apply mask, and issue loads (if necessary) */
/* (d1,vc1,d0,vc0)=(3,0,3,0) */
_v_add_co_u32 v84, vcc, v80, 48                    // coord0.1: coord0 += d0*sg0*VW + vc0
v_cmp_lt_u32 s[58:59], v84, s[sgprSizeI]           // coord0 < size0
v_cmp_lt_u32 s[62:63], v81, s[sgprSizeJ]           // coord1 < size1
s_and_b64 s[62:63], s[58:59], s[62:63]             // in0 && in1
_v_add_lshl_u32 v88, v83, v84, 0x4                 // scaleToBpe: accumulate d0 lower and *= bpe into Cin addr
v_cndmask_b32 v88, -1, v88, s[62:63]               // LDD clip if OOB. offset
/* (d1,vc1,d0,vc0)=(3,0,4,0) */
_v_add_co_u32 v84, vcc, v80, 64                    // coord0.1: coord0 += d0*sg0*VW + vc0
v_cmp_lt_u32 s[58:59], v84, s[sgprSizeI]           // coord0 < size0
v_cmp_lt_u32 s[62:63], v81, s[sgprSizeJ]           // coord1 < size1
s_and_b64 s[62:63], s[58:59], s[62:63]             // in0 && in1
_v_add_lshl_u32 v89, v83, v84, 0x4                 // scaleToBpe: accumulate d0 lower and *= bpe into Cin addr
v_cndmask_b32 v89, -1, v89, s[62:63]               // LDD clip if OOB. offset

/* rC *= alpha batchElements=[(3, 3, 0, 0), (3, 4, 0, 0)] */
v_mul_f64 v[84:85], s[sgprAlpha+0:sgprAlpha+0+1], v[vgprValuC+30:vgprValuC+30+1] // 
v_mul_f64 v[86:87], s[sgprAlpha+2:sgprAlpha+2+1], v[vgprValuC+30:vgprValuC+30+1] // 
v_fma_f64 v[vgprValuC+92:vgprValuC+92+1], s[sgprAlpha+2:sgprAlpha+2+1], -v[vgprValuC+70:vgprValuC+70+1], v[84:85]
v_fma_f64 v[vgprValuC+92 +2:vgprValuC+92 +2+1], s[sgprAlpha+0:sgprAlpha+0+1], v[vgprValuC+70:vgprValuC+70+1], v[86:87]
v_mul_f64 v[84:85], s[sgprAlpha+0:sgprAlpha+0+1], v[vgprValuC+38:vgprValuC+38+1] // 
v_mul_f64 v[86:87], s[sgprAlpha+2:sgprAlpha+2+1], v[vgprValuC+38:vgprValuC+38+1] // 
v_fma_f64 v[vgprValuC+96:vgprValuC+96+1], s[sgprAlpha+2:sgprAlpha+2+1], -v[vgprValuC+78:vgprValuC+78+1], v[84:85]
v_fma_f64 v[vgprValuC+96 +2:vgprValuC+96 +2+1], s[sgprAlpha+0:sgprAlpha+0+1], v[vgprValuC+78:vgprValuC+78+1], v[86:87]

/* apply mask, calc new C and issue writes */
_buffer_store_b128 v[92:95], v88, s[sgprSrdD:sgprSrdD+3], 0, offen, offset:0 // store D
_buffer_store_b128 v[96:99], v89, s[sgprSrdD:sgprSrdD+3], 0, offen, offset:0 // store D
s_nop 0                                            // 1 wait state required when next inst writes vgprs held by previous dwordx4 store inst
s_branch label_GW_End_54                           // jump to end
GW_Beta_55:
s_mov_b32 s35, 0x0                                 // STATIC_DIV: divisior=80
s_mul_i32 s34, 0x666, s[sgprSizeI]                 // tmp1 = dividend * magic hi
s_lshl_b64 s[34:35], s[34:35], 0x10                // left shift 16 bits
s_mul_i32 s33, s[sgprSizeI], 0x6667                // tmp0 = dividend * magic lo
s_add_u32 s34, s33, s34                            // add lo
s_addc_u32 s35, s35, 0x0                           // add hi
s_lshr_b64 s[34:35], s[34:35], 0x21                // tmp1 = (dividend * magic) << shift
s_mov_b32 s33, s34                                 // quotient
s_mul_i32 s34, s33, 0x50                           // quotient*divisor
s_sub_u32 s32, s[sgprSizeI], s34                   // rReg = dividend - quotient*divisor
s_add_u32 s33, -0x1, s[sgprNumWorkGroups0]         // 
s_cmp_ge_u32 s[sgprWorkGroup0], s33                // wg0 >= nwg0-1 ?
s_cselect_b32 s32, s32, 0                          // set rMT0
s_cmpk_gt_u32 s32, 0x0                             // rMT0 > 0
s_cbranch_scc1 GW_B1_E1_53                         // jump if edges required
s_and_b32 s32, 63, s[sgprSizeJ]                    // s32 = s[sgprSizeJ] % 64
s_add_u32 s33, -0x1, s[sgprNumWorkGroups1]         // 
s_cmp_ge_u32 s[sgprWorkGroup1], s33                // wg1 >= nwg1-1
s_cselect_b32 s32, s32, 0                          // set rMT1
s_cmpk_gt_u32 s32, 0x0                             // rMT1 > 0
s_cbranch_scc1 GW_B1_E1_53                         // jump if edges required
GW_B1_E0_50:

/* edge=0, allocate 2 sgpr. perBatchTmpS=2 perBatchMaskS=0 perElementMaskS=0 elementsPerBatch=2 */
/* optSingleColVgpr=1 optSharedColVgpr=0 optSGPRUsage=BufferLoad_Mask optSrdIncForRow=1 */

/******************************************/
/* Global Write Alpha Beta Batch #0 (d1,d0,vc1,vc0) = */
/*    (0,0,0,0:vw1); (0,1,0,0:vw1)        */
/******************************************/

/* calc coords, apply mask, and issue loads (if necessary) */
/* (d1,vc1,d0,vc0)=(0,0,0,0) */
_v_add_lshl_u32 v89, v82, v80, 0x4                 // optSingleColVgpr scaleToBpe: sharedAddrVgpr <- cinRowPtr + coord0, scaled by BPE. BSHERE:coord0=80, coord0Vgpr=80
_buffer_load_b128 v[92:95], v89, s[sgprSrdC:sgprSrdC+3], 0, offen offset:0 // load C for beta calc
/* (d1,vc1,d0,vc0)=(0,0,1,0) */
_buffer_load_b128 v[100:103], v89, s[sgprSrdC:sgprSrdC+3], 0, offen offset:256 // load C for beta calc
_v_add_lshl_u32 v88, v83, v80, 0x4                 // optSingleColVgpr scaleToBpe: sharedAddrVgpr <- cinRowPtr + coord0, scaled by BPE. BSHERE:coord0=80, coord0Vgpr=80

/* rC *= alpha batchElements=[(0, 0, 0, 0), (0, 1, 0, 0)] */
v_mul_f64 v[84:85], s[sgprAlpha+0:sgprAlpha+0+1], v[vgprValuC+0:vgprValuC+0+1] // 
v_mul_f64 v[86:87], s[sgprAlpha+2:sgprAlpha+2+1], v[vgprValuC+0:vgprValuC+0+1] // 
v_fma_f64 v[vgprValuC+96:vgprValuC+96+1], s[sgprAlpha+2:sgprAlpha+2+1], -v[vgprValuC+40:vgprValuC+40+1], v[84:85]
v_fma_f64 v[vgprValuC+96 +2:vgprValuC+96 +2+1], s[sgprAlpha+0:sgprAlpha+0+1], v[vgprValuC+40:vgprValuC+40+1], v[86:87]
v_mul_f64 v[84:85], s[sgprAlpha+0:sgprAlpha+0+1], v[vgprValuC+8:vgprValuC+8+1] // 
v_mul_f64 v[86:87], s[sgprAlpha+2:sgprAlpha+2+1], v[vgprValuC+8:vgprValuC+8+1] // 
v_fma_f64 v[vgprValuC+104:vgprValuC+104+1], s[sgprAlpha+2:sgprAlpha+2+1], -v[vgprValuC+48:vgprValuC+48+1], v[84:85]
v_fma_f64 v[vgprValuC+104 +2:vgprValuC+104 +2+1], s[sgprAlpha+0:sgprAlpha+0+1], v[vgprValuC+48:vgprValuC+48+1], v[86:87]

/* apply mask, calc new C and issue writes */

s_waitcnt vmcnt(1)                                 // wait C (interleaved) 1 = 2 - 0 + 0 - 1
v_fma_f64 v[vgprValuC+96:vgprValuC+96+1], v[92:93], s[sgprBeta+0:sgprBeta+0+1], v[vgprValuC+96:vgprValuC+96+1]
v_fma_f64 v[vgprValuC+96:vgprValuC+96+1], v[94:95], -s[sgprBeta+2:sgprBeta+2+1], v[vgprValuC+96:vgprValuC+96+1]
v_fma_f64 v[vgprValuC+98:vgprValuC+98+1], v[92:93], s[sgprBeta+2:sgprBeta+2+1], v[vgprValuC+98:vgprValuC+98+1]
v_fma_f64 v[vgprValuC+98:vgprValuC+98+1], v[94:95], s[sgprBeta+0:sgprBeta+0+1], v[vgprValuC+98:vgprValuC+98+1]
_buffer_store_b128 v[96:99], v88, s[sgprSrdD:sgprSrdD+3], 0, offen, offset:0 // store D

s_waitcnt vmcnt(1)                                 // wait C (interleaved) 1 = 2 - 1 + 1 - 1
v_fma_f64 v[vgprValuC+104:vgprValuC+104+1], v[100:101], s[sgprBeta+0:sgprBeta+0+1], v[vgprValuC+104:vgprValuC+104+1]
v_fma_f64 v[vgprValuC+104:vgprValuC+104+1], v[102:103], -s[sgprBeta+2:sgprBeta+2+1], v[vgprValuC+104:vgprValuC+104+1]
v_fma_f64 v[vgprValuC+106:vgprValuC+106+1], v[100:101], s[sgprBeta+2:sgprBeta+2+1], v[vgprValuC+106:vgprValuC+106+1]
v_fma_f64 v[vgprValuC+106:vgprValuC+106+1], v[102:103], s[sgprBeta+0:sgprBeta+0+1], v[vgprValuC+106:vgprValuC+106+1]
_buffer_store_b128 v[104:107], v88, s[sgprSrdD:sgprSrdD+3], 0, offen, offset:256 // store D
s_nop 0                                            // 1 wait state required when next inst writes vgprs held by previous dwordx4 store inst
/* optSingleColVgpr=1 optSharedColVgpr=0 optSGPRUsage=BufferLoad_Mask optSrdIncForRow=1 */

/******************************************/
/* Global Write Alpha Beta Batch #1 (d1,d0,vc1,vc0) = */
/*    (0,2,0,0:vw1); (0,3,0,0:vw1)        */
/******************************************/

/* calc coords, apply mask, and issue loads (if necessary) */
/* (d1,vc1,d0,vc0)=(0,0,2,0) */
_buffer_load_b128 v[92:95], v89, s[sgprSrdC:sgprSrdC+3], 0, offen offset:512 // load C for beta calc
/* (d1,vc1,d0,vc0)=(0,0,3,0) */
_buffer_load_b128 v[100:103], v89, s[sgprSrdC:sgprSrdC+3], 0, offen offset:768 // load C for beta calc

/* rC *= alpha batchElements=[(0, 2, 0, 0), (0, 3, 0, 0)] */
v_mul_f64 v[84:85], s[sgprAlpha+0:sgprAlpha+0+1], v[vgprValuC+16:vgprValuC+16+1] // 
v_mul_f64 v[86:87], s[sgprAlpha+2:sgprAlpha+2+1], v[vgprValuC+16:vgprValuC+16+1] // 
v_fma_f64 v[vgprValuC+96:vgprValuC+96+1], s[sgprAlpha+2:sgprAlpha+2+1], -v[vgprValuC+56:vgprValuC+56+1], v[84:85]
v_fma_f64 v[vgprValuC+96 +2:vgprValuC+96 +2+1], s[sgprAlpha+0:sgprAlpha+0+1], v[vgprValuC+56:vgprValuC+56+1], v[86:87]
v_mul_f64 v[84:85], s[sgprAlpha+0:sgprAlpha+0+1], v[vgprValuC+24:vgprValuC+24+1] // 
v_mul_f64 v[86:87], s[sgprAlpha+2:sgprAlpha+2+1], v[vgprValuC+24:vgprValuC+24+1] // 
v_fma_f64 v[vgprValuC+104:vgprValuC+104+1], s[sgprAlpha+2:sgprAlpha+2+1], -v[vgprValuC+64:vgprValuC+64+1], v[84:85]
v_fma_f64 v[vgprValuC+104 +2:vgprValuC+104 +2+1], s[sgprAlpha+0:sgprAlpha+0+1], v[vgprValuC+64:vgprValuC+64+1], v[86:87]

/* apply mask, calc new C and issue writes */

s_waitcnt vmcnt(1)                                 // wait C (interleaved) 1 = 2 - 0 + 0 - 1
v_fma_f64 v[vgprValuC+96:vgprValuC+96+1], v[92:93], s[sgprBeta+0:sgprBeta+0+1], v[vgprValuC+96:vgprValuC+96+1]
v_fma_f64 v[vgprValuC+96:vgprValuC+96+1], v[94:95], -s[sgprBeta+2:sgprBeta+2+1], v[vgprValuC+96:vgprValuC+96+1]
v_fma_f64 v[vgprValuC+98:vgprValuC+98+1], v[92:93], s[sgprBeta+2:sgprBeta+2+1], v[vgprValuC+98:vgprValuC+98+1]
v_fma_f64 v[vgprValuC+98:vgprValuC+98+1], v[94:95], s[sgprBeta+0:sgprBeta+0+1], v[vgprValuC+98:vgprValuC+98+1]
_buffer_store_b128 v[96:99], v88, s[sgprSrdD:sgprSrdD+3], 0, offen, offset:512 // store D

s_waitcnt vmcnt(1)                                 // wait C (interleaved) 1 = 2 - 1 + 1 - 1
v_fma_f64 v[vgprValuC+104:vgprValuC+104+1], v[100:101], s[sgprBeta+0:sgprBeta+0+1], v[vgprValuC+104:vgprValuC+104+1]
v_fma_f64 v[vgprValuC+104:vgprValuC+104+1], v[102:103], -s[sgprBeta+2:sgprBeta+2+1], v[vgprValuC+104:vgprValuC+104+1]
v_fma_f64 v[vgprValuC+106:vgprValuC+106+1], v[100:101], s[sgprBeta+2:sgprBeta+2+1], v[vgprValuC+106:vgprValuC+106+1]
v_fma_f64 v[vgprValuC+106:vgprValuC+106+1], v[102:103], s[sgprBeta+0:sgprBeta+0+1], v[vgprValuC+106:vgprValuC+106+1]
_buffer_store_b128 v[104:107], v88, s[sgprSrdD:sgprSrdD+3], 0, offen, offset:768 // store D
s_nop 0                                            // 1 wait state required when next inst writes vgprs held by previous dwordx4 store inst
/* optSingleColVgpr=1 optSharedColVgpr=0 optSGPRUsage=BufferLoad_Mask optSrdIncForRow=1 */

/******************************************/
/* Global Write Alpha Beta Batch #2 (d1,d0,vc1,vc0) = */
/*    (0,4,0,0:vw1); (1,0,0,0:vw1)        */
/******************************************/

/* calc coords, apply mask, and issue loads (if necessary) */
/* (d1,vc1,d0,vc0)=(0,0,4,0) */
_buffer_load_b128 v[92:95], v89, s[sgprSrdC:sgprSrdC+3], 0, offen offset:1024 // load C for beta calc
/* (d1,vc1,d0,vc0)=(1,0,0,0) */
s_mul_i32 s32, s[sgprStrideC1J], 64                // scale StrideC *= numRows(4) * bpe
s_add_u32  s[sgprSrdC+0], s[sgprSrdC+0], s32       // incToNextRow: gra SRD += inc(lower)
s_addc_u32  s[sgprSrdC+1], s[sgprSrdC+1], 0        // incToNextRow: gra SRD += inc(upper)
_buffer_load_b128 v[100:103], v89, s[sgprSrdC:sgprSrdC+3], 0, offen offset:0 // load C for beta calc

/* rC *= alpha batchElements=[(0, 4, 0, 0), (1, 0, 0, 0)] */
v_mul_f64 v[84:85], s[sgprAlpha+0:sgprAlpha+0+1], v[vgprValuC+32:vgprValuC+32+1] // 
v_mul_f64 v[86:87], s[sgprAlpha+2:sgprAlpha+2+1], v[vgprValuC+32:vgprValuC+32+1] // 
v_fma_f64 v[vgprValuC+96:vgprValuC+96+1], s[sgprAlpha+2:sgprAlpha+2+1], -v[vgprValuC+72:vgprValuC+72+1], v[84:85]
v_fma_f64 v[vgprValuC+96 +2:vgprValuC+96 +2+1], s[sgprAlpha+0:sgprAlpha+0+1], v[vgprValuC+72:vgprValuC+72+1], v[86:87]
v_mul_f64 v[84:85], s[sgprAlpha+0:sgprAlpha+0+1], v[vgprValuC+2:vgprValuC+2+1] // 
v_mul_f64 v[86:87], s[sgprAlpha+2:sgprAlpha+2+1], v[vgprValuC+2:vgprValuC+2+1] // 
v_fma_f64 v[vgprValuC+104:vgprValuC+104+1], s[sgprAlpha+2:sgprAlpha+2+1], -v[vgprValuC+42:vgprValuC+42+1], v[84:85]
v_fma_f64 v[vgprValuC+104 +2:vgprValuC+104 +2+1], s[sgprAlpha+0:sgprAlpha+0+1], v[vgprValuC+42:vgprValuC+42+1], v[86:87]

/* apply mask, calc new C and issue writes */

s_waitcnt vmcnt(1)                                 // wait C (interleaved) 1 = 2 - 0 + 0 - 1
v_fma_f64 v[vgprValuC+96:vgprValuC+96+1], v[92:93], s[sgprBeta+0:sgprBeta+0+1], v[vgprValuC+96:vgprValuC+96+1]
v_fma_f64 v[vgprValuC+96:vgprValuC+96+1], v[94:95], -s[sgprBeta+2:sgprBeta+2+1], v[vgprValuC+96:vgprValuC+96+1]
v_fma_f64 v[vgprValuC+98:vgprValuC+98+1], v[92:93], s[sgprBeta+2:sgprBeta+2+1], v[vgprValuC+98:vgprValuC+98+1]
v_fma_f64 v[vgprValuC+98:vgprValuC+98+1], v[94:95], s[sgprBeta+0:sgprBeta+0+1], v[vgprValuC+98:vgprValuC+98+1]
_buffer_store_b128 v[96:99], v88, s[sgprSrdD:sgprSrdD+3], 0, offen, offset:1024 // store D

s_waitcnt vmcnt(1)                                 // wait C (interleaved) 1 = 2 - 1 + 1 - 1
v_fma_f64 v[vgprValuC+104:vgprValuC+104+1], v[100:101], s[sgprBeta+0:sgprBeta+0+1], v[vgprValuC+104:vgprValuC+104+1]
v_fma_f64 v[vgprValuC+104:vgprValuC+104+1], v[102:103], -s[sgprBeta+2:sgprBeta+2+1], v[vgprValuC+104:vgprValuC+104+1]
v_fma_f64 v[vgprValuC+106:vgprValuC+106+1], v[100:101], s[sgprBeta+2:sgprBeta+2+1], v[vgprValuC+106:vgprValuC+106+1]
v_fma_f64 v[vgprValuC+106:vgprValuC+106+1], v[102:103], s[sgprBeta+0:sgprBeta+0+1], v[vgprValuC+106:vgprValuC+106+1]
s_mul_i32 s32, s[sgprStrideD1J], 64                // scale StrideD *= numRows(4) * bpe
s_add_u32  s[sgprSrdD+0], s[sgprSrdD+0], s32       // incToNextRow: gra SRD += inc(lower)
s_addc_u32  s[sgprSrdD+1], s[sgprSrdD+1], 0        // incToNextRow: gra SRD += inc(upper)
_buffer_store_b128 v[104:107], v88, s[sgprSrdD:sgprSrdD+3], 0, offen, offset:0 // store D
s_nop 0                                            // 1 wait state required when next inst writes vgprs held by previous dwordx4 store inst
/* optSingleColVgpr=1 optSharedColVgpr=0 optSGPRUsage=BufferLoad_Mask optSrdIncForRow=1 */

/******************************************/
/* Global Write Alpha Beta Batch #3 (d1,d0,vc1,vc0) = */
/*    (1,1,0,0:vw1); (1,2,0,0:vw1)        */
/******************************************/

/* calc coords, apply mask, and issue loads (if necessary) */
/* (d1,vc1,d0,vc0)=(1,0,1,0) */
_buffer_load_b128 v[92:95], v89, s[sgprSrdC:sgprSrdC+3], 0, offen offset:256 // load C for beta calc
/* (d1,vc1,d0,vc0)=(1,0,2,0) */
_buffer_load_b128 v[100:103], v89, s[sgprSrdC:sgprSrdC+3], 0, offen offset:512 // load C for beta calc

/* rC *= alpha batchElements=[(1, 1, 0, 0), (1, 2, 0, 0)] */
v_mul_f64 v[84:85], s[sgprAlpha+0:sgprAlpha+0+1], v[vgprValuC+10:vgprValuC+10+1] // 
v_mul_f64 v[86:87], s[sgprAlpha+2:sgprAlpha+2+1], v[vgprValuC+10:vgprValuC+10+1] // 
v_fma_f64 v[vgprValuC+96:vgprValuC+96+1], s[sgprAlpha+2:sgprAlpha+2+1], -v[vgprValuC+50:vgprValuC+50+1], v[84:85]
v_fma_f64 v[vgprValuC+96 +2:vgprValuC+96 +2+1], s[sgprAlpha+0:sgprAlpha+0+1], v[vgprValuC+50:vgprValuC+50+1], v[86:87]
v_mul_f64 v[84:85], s[sgprAlpha+0:sgprAlpha+0+1], v[vgprValuC+18:vgprValuC+18+1] // 
v_mul_f64 v[86:87], s[sgprAlpha+2:sgprAlpha+2+1], v[vgprValuC+18:vgprValuC+18+1] // 
v_fma_f64 v[vgprValuC+104:vgprValuC+104+1], s[sgprAlpha+2:sgprAlpha+2+1], -v[vgprValuC+58:vgprValuC+58+1], v[84:85]
v_fma_f64 v[vgprValuC+104 +2:vgprValuC+104 +2+1], s[sgprAlpha+0:sgprAlpha+0+1], v[vgprValuC+58:vgprValuC+58+1], v[86:87]

/* apply mask, calc new C and issue writes */

s_waitcnt vmcnt(1)                                 // wait C (interleaved) 1 = 2 - 0 + 0 - 1
v_fma_f64 v[vgprValuC+96:vgprValuC+96+1], v[92:93], s[sgprBeta+0:sgprBeta+0+1], v[vgprValuC+96:vgprValuC+96+1]
v_fma_f64 v[vgprValuC+96:vgprValuC+96+1], v[94:95], -s[sgprBeta+2:sgprBeta+2+1], v[vgprValuC+96:vgprValuC+96+1]
v_fma_f64 v[vgprValuC+98:vgprValuC+98+1], v[92:93], s[sgprBeta+2:sgprBeta+2+1], v[vgprValuC+98:vgprValuC+98+1]
v_fma_f64 v[vgprValuC+98:vgprValuC+98+1], v[94:95], s[sgprBeta+0:sgprBeta+0+1], v[vgprValuC+98:vgprValuC+98+1]
_buffer_store_b128 v[96:99], v88, s[sgprSrdD:sgprSrdD+3], 0, offen, offset:256 // store D

s_waitcnt vmcnt(1)                                 // wait C (interleaved) 1 = 2 - 1 + 1 - 1
v_fma_f64 v[vgprValuC+104:vgprValuC+104+1], v[100:101], s[sgprBeta+0:sgprBeta+0+1], v[vgprValuC+104:vgprValuC+104+1]
v_fma_f64 v[vgprValuC+104:vgprValuC+104+1], v[102:103], -s[sgprBeta+2:sgprBeta+2+1], v[vgprValuC+104:vgprValuC+104+1]
v_fma_f64 v[vgprValuC+106:vgprValuC+106+1], v[100:101], s[sgprBeta+2:sgprBeta+2+1], v[vgprValuC+106:vgprValuC+106+1]
v_fma_f64 v[vgprValuC+106:vgprValuC+106+1], v[102:103], s[sgprBeta+0:sgprBeta+0+1], v[vgprValuC+106:vgprValuC+106+1]
_buffer_store_b128 v[104:107], v88, s[sgprSrdD:sgprSrdD+3], 0, offen, offset:512 // store D
s_nop 0                                            // 1 wait state required when next inst writes vgprs held by previous dwordx4 store inst
/* optSingleColVgpr=1 optSharedColVgpr=0 optSGPRUsage=BufferLoad_Mask optSrdIncForRow=1 */

/******************************************/
/* Global Write Alpha Beta Batch #4 (d1,d0,vc1,vc0) = */
/*    (1,3,0,0:vw1); (1,4,0,0:vw1)        */
/******************************************/

/* calc coords, apply mask, and issue loads (if necessary) */
/* (d1,vc1,d0,vc0)=(1,0,3,0) */
_buffer_load_b128 v[92:95], v89, s[sgprSrdC:sgprSrdC+3], 0, offen offset:768 // load C for beta calc
/* (d1,vc1,d0,vc0)=(1,0,4,0) */
_buffer_load_b128 v[100:103], v89, s[sgprSrdC:sgprSrdC+3], 0, offen offset:1024 // load C for beta calc

/* rC *= alpha batchElements=[(1, 3, 0, 0), (1, 4, 0, 0)] */
v_mul_f64 v[84:85], s[sgprAlpha+0:sgprAlpha+0+1], v[vgprValuC+26:vgprValuC+26+1] // 
v_mul_f64 v[86:87], s[sgprAlpha+2:sgprAlpha+2+1], v[vgprValuC+26:vgprValuC+26+1] // 
v_fma_f64 v[vgprValuC+96:vgprValuC+96+1], s[sgprAlpha+2:sgprAlpha+2+1], -v[vgprValuC+66:vgprValuC+66+1], v[84:85]
v_fma_f64 v[vgprValuC+96 +2:vgprValuC+96 +2+1], s[sgprAlpha+0:sgprAlpha+0+1], v[vgprValuC+66:vgprValuC+66+1], v[86:87]
v_mul_f64 v[84:85], s[sgprAlpha+0:sgprAlpha+0+1], v[vgprValuC+34:vgprValuC+34+1] // 
v_mul_f64 v[86:87], s[sgprAlpha+2:sgprAlpha+2+1], v[vgprValuC+34:vgprValuC+34+1] // 
v_fma_f64 v[vgprValuC+104:vgprValuC+104+1], s[sgprAlpha+2:sgprAlpha+2+1], -v[vgprValuC+74:vgprValuC+74+1], v[84:85]
v_fma_f64 v[vgprValuC+104 +2:vgprValuC+104 +2+1], s[sgprAlpha+0:sgprAlpha+0+1], v[vgprValuC+74:vgprValuC+74+1], v[86:87]

/* apply mask, calc new C and issue writes */

s_waitcnt vmcnt(1)                                 // wait C (interleaved) 1 = 2 - 0 + 0 - 1
v_fma_f64 v[vgprValuC+96:vgprValuC+96+1], v[92:93], s[sgprBeta+0:sgprBeta+0+1], v[vgprValuC+96:vgprValuC+96+1]
v_fma_f64 v[vgprValuC+96:vgprValuC+96+1], v[94:95], -s[sgprBeta+2:sgprBeta+2+1], v[vgprValuC+96:vgprValuC+96+1]
v_fma_f64 v[vgprValuC+98:vgprValuC+98+1], v[92:93], s[sgprBeta+2:sgprBeta+2+1], v[vgprValuC+98:vgprValuC+98+1]
v_fma_f64 v[vgprValuC+98:vgprValuC+98+1], v[94:95], s[sgprBeta+0:sgprBeta+0+1], v[vgprValuC+98:vgprValuC+98+1]
_buffer_store_b128 v[96:99], v88, s[sgprSrdD:sgprSrdD+3], 0, offen, offset:768 // store D

s_waitcnt vmcnt(1)                                 // wait C (interleaved) 1 = 2 - 1 + 1 - 1
v_fma_f64 v[vgprValuC+104:vgprValuC+104+1], v[100:101], s[sgprBeta+0:sgprBeta+0+1], v[vgprValuC+104:vgprValuC+104+1]
v_fma_f64 v[vgprValuC+104:vgprValuC+104+1], v[102:103], -s[sgprBeta+2:sgprBeta+2+1], v[vgprValuC+104:vgprValuC+104+1]
v_fma_f64 v[vgprValuC+106:vgprValuC+106+1], v[100:101], s[sgprBeta+2:sgprBeta+2+1], v[vgprValuC+106:vgprValuC+106+1]
v_fma_f64 v[vgprValuC+106:vgprValuC+106+1], v[102:103], s[sgprBeta+0:sgprBeta+0+1], v[vgprValuC+106:vgprValuC+106+1]
_buffer_store_b128 v[104:107], v88, s[sgprSrdD:sgprSrdD+3], 0, offen, offset:1024 // store D
s_nop 0                                            // 1 wait state required when next inst writes vgprs held by previous dwordx4 store inst
/* optSingleColVgpr=1 optSharedColVgpr=0 optSGPRUsage=BufferLoad_Mask optSrdIncForRow=1 */

/******************************************/
/* Global Write Alpha Beta Batch #5 (d1,d0,vc1,vc0) = */
/*    (2,0,0,0:vw1); (2,1,0,0:vw1)        */
/******************************************/

/* calc coords, apply mask, and issue loads (if necessary) */
/* (d1,vc1,d0,vc0)=(2,0,0,0) */
s_mul_i32 s32, s[sgprStrideC1J], 64                // scale StrideC *= numRows(4) * bpe
s_add_u32  s[sgprSrdC+0], s[sgprSrdC+0], s32       // incToNextRow: gra SRD += inc(lower)
s_addc_u32  s[sgprSrdC+1], s[sgprSrdC+1], 0        // incToNextRow: gra SRD += inc(upper)
_buffer_load_b128 v[92:95], v89, s[sgprSrdC:sgprSrdC+3], 0, offen offset:0 // load C for beta calc
/* (d1,vc1,d0,vc0)=(2,0,1,0) */
_buffer_load_b128 v[100:103], v89, s[sgprSrdC:sgprSrdC+3], 0, offen offset:256 // load C for beta calc

/* rC *= alpha batchElements=[(2, 0, 0, 0), (2, 1, 0, 0)] */
v_mul_f64 v[84:85], s[sgprAlpha+0:sgprAlpha+0+1], v[vgprValuC+4:vgprValuC+4+1] // 
v_mul_f64 v[86:87], s[sgprAlpha+2:sgprAlpha+2+1], v[vgprValuC+4:vgprValuC+4+1] // 
v_fma_f64 v[vgprValuC+96:vgprValuC+96+1], s[sgprAlpha+2:sgprAlpha+2+1], -v[vgprValuC+44:vgprValuC+44+1], v[84:85]
v_fma_f64 v[vgprValuC+96 +2:vgprValuC+96 +2+1], s[sgprAlpha+0:sgprAlpha+0+1], v[vgprValuC+44:vgprValuC+44+1], v[86:87]
v_mul_f64 v[84:85], s[sgprAlpha+0:sgprAlpha+0+1], v[vgprValuC+12:vgprValuC+12+1] // 
v_mul_f64 v[86:87], s[sgprAlpha+2:sgprAlpha+2+1], v[vgprValuC+12:vgprValuC+12+1] // 
v_fma_f64 v[vgprValuC+104:vgprValuC+104+1], s[sgprAlpha+2:sgprAlpha+2+1], -v[vgprValuC+52:vgprValuC+52+1], v[84:85]
v_fma_f64 v[vgprValuC+104 +2:vgprValuC+104 +2+1], s[sgprAlpha+0:sgprAlpha+0+1], v[vgprValuC+52:vgprValuC+52+1], v[86:87]

/* apply mask, calc new C and issue writes */

s_waitcnt vmcnt(1)                                 // wait C (interleaved) 1 = 2 - 0 + 0 - 1
v_fma_f64 v[vgprValuC+96:vgprValuC+96+1], v[92:93], s[sgprBeta+0:sgprBeta+0+1], v[vgprValuC+96:vgprValuC+96+1]
v_fma_f64 v[vgprValuC+96:vgprValuC+96+1], v[94:95], -s[sgprBeta+2:sgprBeta+2+1], v[vgprValuC+96:vgprValuC+96+1]
v_fma_f64 v[vgprValuC+98:vgprValuC+98+1], v[92:93], s[sgprBeta+2:sgprBeta+2+1], v[vgprValuC+98:vgprValuC+98+1]
v_fma_f64 v[vgprValuC+98:vgprValuC+98+1], v[94:95], s[sgprBeta+0:sgprBeta+0+1], v[vgprValuC+98:vgprValuC+98+1]
s_mul_i32 s32, s[sgprStrideD1J], 64                // scale StrideD *= numRows(4) * bpe
s_add_u32  s[sgprSrdD+0], s[sgprSrdD+0], s32       // incToNextRow: gra SRD += inc(lower)
s_addc_u32  s[sgprSrdD+1], s[sgprSrdD+1], 0        // incToNextRow: gra SRD += inc(upper)
_buffer_store_b128 v[96:99], v88, s[sgprSrdD:sgprSrdD+3], 0, offen, offset:0 // store D

s_waitcnt vmcnt(1)                                 // wait C (interleaved) 1 = 2 - 1 + 1 - 1
v_fma_f64 v[vgprValuC+104:vgprValuC+104+1], v[100:101], s[sgprBeta+0:sgprBeta+0+1], v[vgprValuC+104:vgprValuC+104+1]
v_fma_f64 v[vgprValuC+104:vgprValuC+104+1], v[102:103], -s[sgprBeta+2:sgprBeta+2+1], v[vgprValuC+104:vgprValuC+104+1]
v_fma_f64 v[vgprValuC+106:vgprValuC+106+1], v[100:101], s[sgprBeta+2:sgprBeta+2+1], v[vgprValuC+106:vgprValuC+106+1]
v_fma_f64 v[vgprValuC+106:vgprValuC+106+1], v[102:103], s[sgprBeta+0:sgprBeta+0+1], v[vgprValuC+106:vgprValuC+106+1]
_buffer_store_b128 v[104:107], v88, s[sgprSrdD:sgprSrdD+3], 0, offen, offset:256 // store D
s_nop 0                                            // 1 wait state required when next inst writes vgprs held by previous dwordx4 store inst
/* optSingleColVgpr=1 optSharedColVgpr=0 optSGPRUsage=BufferLoad_Mask optSrdIncForRow=1 */

/******************************************/
/* Global Write Alpha Beta Batch #6 (d1,d0,vc1,vc0) = */
/*    (2,2,0,0:vw1); (2,3,0,0:vw1)        */
/******************************************/

/* calc coords, apply mask, and issue loads (if necessary) */
/* (d1,vc1,d0,vc0)=(2,0,2,0) */
_buffer_load_b128 v[92:95], v89, s[sgprSrdC:sgprSrdC+3], 0, offen offset:512 // load C for beta calc
/* (d1,vc1,d0,vc0)=(2,0,3,0) */
_buffer_load_b128 v[100:103], v89, s[sgprSrdC:sgprSrdC+3], 0, offen offset:768 // load C for beta calc

/* rC *= alpha batchElements=[(2, 2, 0, 0), (2, 3, 0, 0)] */
v_mul_f64 v[84:85], s[sgprAlpha+0:sgprAlpha+0+1], v[vgprValuC+20:vgprValuC+20+1] // 
v_mul_f64 v[86:87], s[sgprAlpha+2:sgprAlpha+2+1], v[vgprValuC+20:vgprValuC+20+1] // 
v_fma_f64 v[vgprValuC+96:vgprValuC+96+1], s[sgprAlpha+2:sgprAlpha+2+1], -v[vgprValuC+60:vgprValuC+60+1], v[84:85]
v_fma_f64 v[vgprValuC+96 +2:vgprValuC+96 +2+1], s[sgprAlpha+0:sgprAlpha+0+1], v[vgprValuC+60:vgprValuC+60+1], v[86:87]
v_mul_f64 v[84:85], s[sgprAlpha+0:sgprAlpha+0+1], v[vgprValuC+28:vgprValuC+28+1] // 
v_mul_f64 v[86:87], s[sgprAlpha+2:sgprAlpha+2+1], v[vgprValuC+28:vgprValuC+28+1] // 
v_fma_f64 v[vgprValuC+104:vgprValuC+104+1], s[sgprAlpha+2:sgprAlpha+2+1], -v[vgprValuC+68:vgprValuC+68+1], v[84:85]
v_fma_f64 v[vgprValuC+104 +2:vgprValuC+104 +2+1], s[sgprAlpha+0:sgprAlpha+0+1], v[vgprValuC+68:vgprValuC+68+1], v[86:87]

/* apply mask, calc new C and issue writes */

s_waitcnt vmcnt(1)                                 // wait C (interleaved) 1 = 2 - 0 + 0 - 1
v_fma_f64 v[vgprValuC+96:vgprValuC+96+1], v[92:93], s[sgprBeta+0:sgprBeta+0+1], v[vgprValuC+96:vgprValuC+96+1]
v_fma_f64 v[vgprValuC+96:vgprValuC+96+1], v[94:95], -s[sgprBeta+2:sgprBeta+2+1], v[vgprValuC+96:vgprValuC+96+1]
v_fma_f64 v[vgprValuC+98:vgprValuC+98+1], v[92:93], s[sgprBeta+2:sgprBeta+2+1], v[vgprValuC+98:vgprValuC+98+1]
v_fma_f64 v[vgprValuC+98:vgprValuC+98+1], v[94:95], s[sgprBeta+0:sgprBeta+0+1], v[vgprValuC+98:vgprValuC+98+1]
_buffer_store_b128 v[96:99], v88, s[sgprSrdD:sgprSrdD+3], 0, offen, offset:512 // store D

s_waitcnt vmcnt(1)                                 // wait C (interleaved) 1 = 2 - 1 + 1 - 1
v_fma_f64 v[vgprValuC+104:vgprValuC+104+1], v[100:101], s[sgprBeta+0:sgprBeta+0+1], v[vgprValuC+104:vgprValuC+104+1]
v_fma_f64 v[vgprValuC+104:vgprValuC+104+1], v[102:103], -s[sgprBeta+2:sgprBeta+2+1], v[vgprValuC+104:vgprValuC+104+1]
v_fma_f64 v[vgprValuC+106:vgprValuC+106+1], v[100:101], s[sgprBeta+2:sgprBeta+2+1], v[vgprValuC+106:vgprValuC+106+1]
v_fma_f64 v[vgprValuC+106:vgprValuC+106+1], v[102:103], s[sgprBeta+0:sgprBeta+0+1], v[vgprValuC+106:vgprValuC+106+1]
_buffer_store_b128 v[104:107], v88, s[sgprSrdD:sgprSrdD+3], 0, offen, offset:768 // store D
s_nop 0                                            // 1 wait state required when next inst writes vgprs held by previous dwordx4 store inst
/* optSingleColVgpr=1 optSharedColVgpr=0 optSGPRUsage=BufferLoad_Mask optSrdIncForRow=1 */

/******************************************/
/* Global Write Alpha Beta Batch #7 (d1,d0,vc1,vc0) = */
/*    (2,4,0,0:vw1); (3,0,0,0:vw1)        */
/******************************************/

/* calc coords, apply mask, and issue loads (if necessary) */
/* (d1,vc1,d0,vc0)=(2,0,4,0) */
_buffer_load_b128 v[92:95], v89, s[sgprSrdC:sgprSrdC+3], 0, offen offset:1024 // load C for beta calc
/* (d1,vc1,d0,vc0)=(3,0,0,0) */
s_mul_i32 s32, s[sgprStrideC1J], 64                // scale StrideC *= numRows(4) * bpe
s_add_u32  s[sgprSrdC+0], s[sgprSrdC+0], s32       // incToNextRow: gra SRD += inc(lower)
s_addc_u32  s[sgprSrdC+1], s[sgprSrdC+1], 0        // incToNextRow: gra SRD += inc(upper)
_buffer_load_b128 v[100:103], v89, s[sgprSrdC:sgprSrdC+3], 0, offen offset:0 // load C for beta calc

/* rC *= alpha batchElements=[(2, 4, 0, 0), (3, 0, 0, 0)] */
v_mul_f64 v[84:85], s[sgprAlpha+0:sgprAlpha+0+1], v[vgprValuC+36:vgprValuC+36+1] // 
v_mul_f64 v[86:87], s[sgprAlpha+2:sgprAlpha+2+1], v[vgprValuC+36:vgprValuC+36+1] // 
v_fma_f64 v[vgprValuC+96:vgprValuC+96+1], s[sgprAlpha+2:sgprAlpha+2+1], -v[vgprValuC+76:vgprValuC+76+1], v[84:85]
v_fma_f64 v[vgprValuC+96 +2:vgprValuC+96 +2+1], s[sgprAlpha+0:sgprAlpha+0+1], v[vgprValuC+76:vgprValuC+76+1], v[86:87]
v_mul_f64 v[84:85], s[sgprAlpha+0:sgprAlpha+0+1], v[vgprValuC+6:vgprValuC+6+1] // 
v_mul_f64 v[86:87], s[sgprAlpha+2:sgprAlpha+2+1], v[vgprValuC+6:vgprValuC+6+1] // 
v_fma_f64 v[vgprValuC+104:vgprValuC+104+1], s[sgprAlpha+2:sgprAlpha+2+1], -v[vgprValuC+46:vgprValuC+46+1], v[84:85]
v_fma_f64 v[vgprValuC+104 +2:vgprValuC+104 +2+1], s[sgprAlpha+0:sgprAlpha+0+1], v[vgprValuC+46:vgprValuC+46+1], v[86:87]

/* apply mask, calc new C and issue writes */

s_waitcnt vmcnt(1)                                 // wait C (interleaved) 1 = 2 - 0 + 0 - 1
v_fma_f64 v[vgprValuC+96:vgprValuC+96+1], v[92:93], s[sgprBeta+0:sgprBeta+0+1], v[vgprValuC+96:vgprValuC+96+1]
v_fma_f64 v[vgprValuC+96:vgprValuC+96+1], v[94:95], -s[sgprBeta+2:sgprBeta+2+1], v[vgprValuC+96:vgprValuC+96+1]
v_fma_f64 v[vgprValuC+98:vgprValuC+98+1], v[92:93], s[sgprBeta+2:sgprBeta+2+1], v[vgprValuC+98:vgprValuC+98+1]
v_fma_f64 v[vgprValuC+98:vgprValuC+98+1], v[94:95], s[sgprBeta+0:sgprBeta+0+1], v[vgprValuC+98:vgprValuC+98+1]
_buffer_store_b128 v[96:99], v88, s[sgprSrdD:sgprSrdD+3], 0, offen, offset:1024 // store D

s_waitcnt vmcnt(1)                                 // wait C (interleaved) 1 = 2 - 1 + 1 - 1
v_fma_f64 v[vgprValuC+104:vgprValuC+104+1], v[100:101], s[sgprBeta+0:sgprBeta+0+1], v[vgprValuC+104:vgprValuC+104+1]
v_fma_f64 v[vgprValuC+104:vgprValuC+104+1], v[102:103], -s[sgprBeta+2:sgprBeta+2+1], v[vgprValuC+104:vgprValuC+104+1]
v_fma_f64 v[vgprValuC+106:vgprValuC+106+1], v[100:101], s[sgprBeta+2:sgprBeta+2+1], v[vgprValuC+106:vgprValuC+106+1]
v_fma_f64 v[vgprValuC+106:vgprValuC+106+1], v[102:103], s[sgprBeta+0:sgprBeta+0+1], v[vgprValuC+106:vgprValuC+106+1]
s_mul_i32 s32, s[sgprStrideD1J], 64                // scale StrideD *= numRows(4) * bpe
s_add_u32  s[sgprSrdD+0], s[sgprSrdD+0], s32       // incToNextRow: gra SRD += inc(lower)
s_addc_u32  s[sgprSrdD+1], s[sgprSrdD+1], 0        // incToNextRow: gra SRD += inc(upper)
_buffer_store_b128 v[104:107], v88, s[sgprSrdD:sgprSrdD+3], 0, offen, offset:0 // store D
s_nop 0                                            // 1 wait state required when next inst writes vgprs held by previous dwordx4 store inst
/* optSingleColVgpr=1 optSharedColVgpr=0 optSGPRUsage=BufferLoad_Mask optSrdIncForRow=1 */

/******************************************/
/* Global Write Alpha Beta Batch #8 (d1,d0,vc1,vc0) = */
/*    (3,1,0,0:vw1); (3,2,0,0:vw1)        */
/******************************************/

/* calc coords, apply mask, and issue loads (if necessary) */
/* (d1,vc1,d0,vc0)=(3,0,1,0) */
_buffer_load_b128 v[92:95], v89, s[sgprSrdC:sgprSrdC+3], 0, offen offset:256 // load C for beta calc
/* (d1,vc1,d0,vc0)=(3,0,2,0) */
_buffer_load_b128 v[100:103], v89, s[sgprSrdC:sgprSrdC+3], 0, offen offset:512 // load C for beta calc

/* rC *= alpha batchElements=[(3, 1, 0, 0), (3, 2, 0, 0)] */
v_mul_f64 v[84:85], s[sgprAlpha+0:sgprAlpha+0+1], v[vgprValuC+14:vgprValuC+14+1] // 
v_mul_f64 v[86:87], s[sgprAlpha+2:sgprAlpha+2+1], v[vgprValuC+14:vgprValuC+14+1] // 
v_fma_f64 v[vgprValuC+96:vgprValuC+96+1], s[sgprAlpha+2:sgprAlpha+2+1], -v[vgprValuC+54:vgprValuC+54+1], v[84:85]
v_fma_f64 v[vgprValuC+96 +2:vgprValuC+96 +2+1], s[sgprAlpha+0:sgprAlpha+0+1], v[vgprValuC+54:vgprValuC+54+1], v[86:87]
v_mul_f64 v[84:85], s[sgprAlpha+0:sgprAlpha+0+1], v[vgprValuC+22:vgprValuC+22+1] // 
v_mul_f64 v[86:87], s[sgprAlpha+2:sgprAlpha+2+1], v[vgprValuC+22:vgprValuC+22+1] // 
v_fma_f64 v[vgprValuC+104:vgprValuC+104+1], s[sgprAlpha+2:sgprAlpha+2+1], -v[vgprValuC+62:vgprValuC+62+1], v[84:85]
v_fma_f64 v[vgprValuC+104 +2:vgprValuC+104 +2+1], s[sgprAlpha+0:sgprAlpha+0+1], v[vgprValuC+62:vgprValuC+62+1], v[86:87]

/* apply mask, calc new C and issue writes */

s_waitcnt vmcnt(1)                                 // wait C (interleaved) 1 = 2 - 0 + 0 - 1
v_fma_f64 v[vgprValuC+96:vgprValuC+96+1], v[92:93], s[sgprBeta+0:sgprBeta+0+1], v[vgprValuC+96:vgprValuC+96+1]
v_fma_f64 v[vgprValuC+96:vgprValuC+96+1], v[94:95], -s[sgprBeta+2:sgprBeta+2+1], v[vgprValuC+96:vgprValuC+96+1]
v_fma_f64 v[vgprValuC+98:vgprValuC+98+1], v[92:93], s[sgprBeta+2:sgprBeta+2+1], v[vgprValuC+98:vgprValuC+98+1]
v_fma_f64 v[vgprValuC+98:vgprValuC+98+1], v[94:95], s[sgprBeta+0:sgprBeta+0+1], v[vgprValuC+98:vgprValuC+98+1]
_buffer_store_b128 v[96:99], v88, s[sgprSrdD:sgprSrdD+3], 0, offen, offset:256 // store D

s_waitcnt vmcnt(1)                                 // wait C (interleaved) 1 = 2 - 1 + 1 - 1
v_fma_f64 v[vgprValuC+104:vgprValuC+104+1], v[100:101], s[sgprBeta+0:sgprBeta+0+1], v[vgprValuC+104:vgprValuC+104+1]
v_fma_f64 v[vgprValuC+104:vgprValuC+104+1], v[102:103], -s[sgprBeta+2:sgprBeta+2+1], v[vgprValuC+104:vgprValuC+104+1]
v_fma_f64 v[vgprValuC+106:vgprValuC+106+1], v[100:101], s[sgprBeta+2:sgprBeta+2+1], v[vgprValuC+106:vgprValuC+106+1]
v_fma_f64 v[vgprValuC+106:vgprValuC+106+1], v[102:103], s[sgprBeta+0:sgprBeta+0+1], v[vgprValuC+106:vgprValuC+106+1]
_buffer_store_b128 v[104:107], v88, s[sgprSrdD:sgprSrdD+3], 0, offen, offset:512 // store D
s_nop 0                                            // 1 wait state required when next inst writes vgprs held by previous dwordx4 store inst
/* optSingleColVgpr=1 optSharedColVgpr=0 optSGPRUsage=BufferLoad_Mask optSrdIncForRow=1 */

/******************************************/
/* Global Write Alpha Beta Batch #9 (d1,d0,vc1,vc0) = */
/*    (3,3,0,0:vw1); (3,4,0,0:vw1)        */
/******************************************/

/* calc coords, apply mask, and issue loads (if necessary) */
/* (d1,vc1,d0,vc0)=(3,0,3,0) */
_buffer_load_b128 v[92:95], v89, s[sgprSrdC:sgprSrdC+3], 0, offen offset:768 // load C for beta calc
/* (d1,vc1,d0,vc0)=(3,0,4,0) */
_buffer_load_b128 v[100:103], v89, s[sgprSrdC:sgprSrdC+3], 0, offen offset:1024 // load C for beta calc

/* rC *= alpha batchElements=[(3, 3, 0, 0), (3, 4, 0, 0)] */
v_mul_f64 v[84:85], s[sgprAlpha+0:sgprAlpha+0+1], v[vgprValuC+30:vgprValuC+30+1] // 
v_mul_f64 v[86:87], s[sgprAlpha+2:sgprAlpha+2+1], v[vgprValuC+30:vgprValuC+30+1] // 
v_fma_f64 v[vgprValuC+96:vgprValuC+96+1], s[sgprAlpha+2:sgprAlpha+2+1], -v[vgprValuC+70:vgprValuC+70+1], v[84:85]
v_fma_f64 v[vgprValuC+96 +2:vgprValuC+96 +2+1], s[sgprAlpha+0:sgprAlpha+0+1], v[vgprValuC+70:vgprValuC+70+1], v[86:87]
v_mul_f64 v[84:85], s[sgprAlpha+0:sgprAlpha+0+1], v[vgprValuC+38:vgprValuC+38+1] // 
v_mul_f64 v[86:87], s[sgprAlpha+2:sgprAlpha+2+1], v[vgprValuC+38:vgprValuC+38+1] // 
v_fma_f64 v[vgprValuC+104:vgprValuC+104+1], s[sgprAlpha+2:sgprAlpha+2+1], -v[vgprValuC+78:vgprValuC+78+1], v[84:85]
v_fma_f64 v[vgprValuC+104 +2:vgprValuC+104 +2+1], s[sgprAlpha+0:sgprAlpha+0+1], v[vgprValuC+78:vgprValuC+78+1], v[86:87]

/* apply mask, calc new C and issue writes */

s_waitcnt vmcnt(1)                                 // wait C (interleaved) 1 = 2 - 0 + 0 - 1
v_fma_f64 v[vgprValuC+96:vgprValuC+96+1], v[92:93], s[sgprBeta+0:sgprBeta+0+1], v[vgprValuC+96:vgprValuC+96+1]
v_fma_f64 v[vgprValuC+96:vgprValuC+96+1], v[94:95], -s[sgprBeta+2:sgprBeta+2+1], v[vgprValuC+96:vgprValuC+96+1]
v_fma_f64 v[vgprValuC+98:vgprValuC+98+1], v[92:93], s[sgprBeta+2:sgprBeta+2+1], v[vgprValuC+98:vgprValuC+98+1]
v_fma_f64 v[vgprValuC+98:vgprValuC+98+1], v[94:95], s[sgprBeta+0:sgprBeta+0+1], v[vgprValuC+98:vgprValuC+98+1]
_buffer_store_b128 v[96:99], v88, s[sgprSrdD:sgprSrdD+3], 0, offen, offset:768 // store D

s_waitcnt vmcnt(1)                                 // wait C (interleaved) 1 = 2 - 1 + 1 - 1
v_fma_f64 v[vgprValuC+104:vgprValuC+104+1], v[100:101], s[sgprBeta+0:sgprBeta+0+1], v[vgprValuC+104:vgprValuC+104+1]
v_fma_f64 v[vgprValuC+104:vgprValuC+104+1], v[102:103], -s[sgprBeta+2:sgprBeta+2+1], v[vgprValuC+104:vgprValuC+104+1]
v_fma_f64 v[vgprValuC+106:vgprValuC+106+1], v[100:101], s[sgprBeta+2:sgprBeta+2+1], v[vgprValuC+106:vgprValuC+106+1]
v_fma_f64 v[vgprValuC+106:vgprValuC+106+1], v[102:103], s[sgprBeta+0:sgprBeta+0+1], v[vgprValuC+106:vgprValuC+106+1]
_buffer_store_b128 v[104:107], v88, s[sgprSrdD:sgprSrdD+3], 0, offen, offset:1024 // store D
s_nop 0                                            // 1 wait state required when next inst writes vgprs held by previous dwordx4 store inst
s_branch label_GW_End_54                           // jump to end
GW_B1_E1_53:

/* edge=1, allocate 6 sgpr. perBatchTmpS=4 perBatchMaskS=2 perElementMaskS=0 elementsPerBatch=2 */
/* optSingleColVgpr=0 optSharedColVgpr=0 optSGPRUsage=BufferLoad_Edge_Mask optSrdIncForRow=0 */

/******************************************/
/* Global Write Alpha Beta Edge Batch #0 (d1,d0,vc1,vc0) = */
/*    (0,0,0,0:vw1); (0,1,0,0:vw1)        */
/******************************************/

/* calc coords, apply mask, and issue loads (if necessary) */
/* (d1,vc1,d0,vc0)=(0,0,0,0) */
v_cmp_lt_u32 s[58:59], v80, s[sgprSizeI]           // coord0 < size0
v_cmp_lt_u32 s[62:63], v81, s[sgprSizeJ]           // coord1 < size1
s_and_b64 s[62:63], s[58:59], s[62:63]             // in0 && in1
_v_add_lshl_u32 v88, v82, v80, 0x4                 // scaleToBpe: accumulate d0 lower and *= bpe into Cin addr
v_cndmask_b32 v88, -1, v88, s[62:63]               // LDC clip if OOB. offset
_buffer_load_b128 v[92:95], v88, s[sgprSrdC:sgprSrdC+3], 0, offen offset:0 // load C for beta calc
_v_add_lshl_u32 v88, v83, v80, 0x4                 // scaleToBpe: accumulate d0 lower and *= bpe into Cin addr
v_cndmask_b32 v88, -1, v88, s[62:63]               // LDD clip if OOB. offset
/* (d1,vc1,d0,vc0)=(0,0,1,0) */
_v_add_co_u32 v84, vcc, v80, 16                    // coord0.1: coord0 += d0*sg0*VW + vc0
v_cmp_lt_u32 s[58:59], v84, s[sgprSizeI]           // coord0 < size0
v_cmp_lt_u32 s[62:63], v81, s[sgprSizeJ]           // coord1 < size1
s_and_b64 s[62:63], s[58:59], s[62:63]             // in0 && in1
_v_add_lshl_u32 v89, v82, v84, 0x4                 // scaleToBpe: accumulate d0 lower and *= bpe into Cin addr
v_cndmask_b32 v89, -1, v89, s[62:63]               // LDC clip if OOB. offset
_buffer_load_b128 v[100:103], v89, s[sgprSrdC:sgprSrdC+3], 0, offen offset:0 // load C for beta calc
_v_add_lshl_u32 v89, v83, v84, 0x4                 // scaleToBpe: accumulate d0 lower and *= bpe into Cin addr
v_cndmask_b32 v89, -1, v89, s[62:63]               // LDD clip if OOB. offset

/* rC *= alpha batchElements=[(0, 0, 0, 0), (0, 1, 0, 0)] */
v_mul_f64 v[84:85], s[sgprAlpha+0:sgprAlpha+0+1], v[vgprValuC+0:vgprValuC+0+1] // 
v_mul_f64 v[86:87], s[sgprAlpha+2:sgprAlpha+2+1], v[vgprValuC+0:vgprValuC+0+1] // 
v_fma_f64 v[vgprValuC+96:vgprValuC+96+1], s[sgprAlpha+2:sgprAlpha+2+1], -v[vgprValuC+40:vgprValuC+40+1], v[84:85]
v_fma_f64 v[vgprValuC+96 +2:vgprValuC+96 +2+1], s[sgprAlpha+0:sgprAlpha+0+1], v[vgprValuC+40:vgprValuC+40+1], v[86:87]
v_mul_f64 v[84:85], s[sgprAlpha+0:sgprAlpha+0+1], v[vgprValuC+8:vgprValuC+8+1] // 
v_mul_f64 v[86:87], s[sgprAlpha+2:sgprAlpha+2+1], v[vgprValuC+8:vgprValuC+8+1] // 
v_fma_f64 v[vgprValuC+104:vgprValuC+104+1], s[sgprAlpha+2:sgprAlpha+2+1], -v[vgprValuC+48:vgprValuC+48+1], v[84:85]
v_fma_f64 v[vgprValuC+104 +2:vgprValuC+104 +2+1], s[sgprAlpha+0:sgprAlpha+0+1], v[vgprValuC+48:vgprValuC+48+1], v[86:87]
s_waitcnt vmcnt(0)                                 // wait C

/* apply mask, calc new C and issue writes */
v_fma_f64 v[vgprValuC+96:vgprValuC+96+1], v[92:93], s[sgprBeta+0:sgprBeta+0+1], v[vgprValuC+96:vgprValuC+96+1]
v_fma_f64 v[vgprValuC+96:vgprValuC+96+1], v[94:95], -s[sgprBeta+2:sgprBeta+2+1], v[vgprValuC+96:vgprValuC+96+1]
v_fma_f64 v[vgprValuC+98:vgprValuC+98+1], v[92:93], s[sgprBeta+2:sgprBeta+2+1], v[vgprValuC+98:vgprValuC+98+1]
v_fma_f64 v[vgprValuC+98:vgprValuC+98+1], v[94:95], s[sgprBeta+0:sgprBeta+0+1], v[vgprValuC+98:vgprValuC+98+1]
_buffer_store_b128 v[96:99], v88, s[sgprSrdD:sgprSrdD+3], 0, offen, offset:0 // store D
v_fma_f64 v[vgprValuC+104:vgprValuC+104+1], v[100:101], s[sgprBeta+0:sgprBeta+0+1], v[vgprValuC+104:vgprValuC+104+1]
v_fma_f64 v[vgprValuC+104:vgprValuC+104+1], v[102:103], -s[sgprBeta+2:sgprBeta+2+1], v[vgprValuC+104:vgprValuC+104+1]
v_fma_f64 v[vgprValuC+106:vgprValuC+106+1], v[100:101], s[sgprBeta+2:sgprBeta+2+1], v[vgprValuC+106:vgprValuC+106+1]
v_fma_f64 v[vgprValuC+106:vgprValuC+106+1], v[102:103], s[sgprBeta+0:sgprBeta+0+1], v[vgprValuC+106:vgprValuC+106+1]
_buffer_store_b128 v[104:107], v89, s[sgprSrdD:sgprSrdD+3], 0, offen, offset:0 // store D
s_nop 0                                            // 1 wait state required when next inst writes vgprs held by previous dwordx4 store inst
/* optSingleColVgpr=0 optSharedColVgpr=0 optSGPRUsage=BufferLoad_Edge_Mask optSrdIncForRow=0 */

/******************************************/
/* Global Write Alpha Beta Edge Batch #1 (d1,d0,vc1,vc0) = */
/*    (0,2,0,0:vw1); (0,3,0,0:vw1)        */
/******************************************/

/* calc coords, apply mask, and issue loads (if necessary) */
/* (d1,vc1,d0,vc0)=(0,0,2,0) */
_v_add_co_u32 v84, vcc, v80, 32                    // coord0.1: coord0 += d0*sg0*VW + vc0
v_cmp_lt_u32 s[58:59], v84, s[sgprSizeI]           // coord0 < size0
v_cmp_lt_u32 s[62:63], v81, s[sgprSizeJ]           // coord1 < size1
s_and_b64 s[62:63], s[58:59], s[62:63]             // in0 && in1
_v_add_lshl_u32 v88, v82, v84, 0x4                 // scaleToBpe: accumulate d0 lower and *= bpe into Cin addr
v_cndmask_b32 v88, -1, v88, s[62:63]               // LDC clip if OOB. offset
_buffer_load_b128 v[92:95], v88, s[sgprSrdC:sgprSrdC+3], 0, offen offset:0 // load C for beta calc
_v_add_lshl_u32 v88, v83, v84, 0x4                 // scaleToBpe: accumulate d0 lower and *= bpe into Cin addr
v_cndmask_b32 v88, -1, v88, s[62:63]               // LDD clip if OOB. offset
/* (d1,vc1,d0,vc0)=(0,0,3,0) */
_v_add_co_u32 v84, vcc, v80, 48                    // coord0.1: coord0 += d0*sg0*VW + vc0
v_cmp_lt_u32 s[58:59], v84, s[sgprSizeI]           // coord0 < size0
v_cmp_lt_u32 s[62:63], v81, s[sgprSizeJ]           // coord1 < size1
s_and_b64 s[62:63], s[58:59], s[62:63]             // in0 && in1
_v_add_lshl_u32 v89, v82, v84, 0x4                 // scaleToBpe: accumulate d0 lower and *= bpe into Cin addr
v_cndmask_b32 v89, -1, v89, s[62:63]               // LDC clip if OOB. offset
_buffer_load_b128 v[100:103], v89, s[sgprSrdC:sgprSrdC+3], 0, offen offset:0 // load C for beta calc
_v_add_lshl_u32 v89, v83, v84, 0x4                 // scaleToBpe: accumulate d0 lower and *= bpe into Cin addr
v_cndmask_b32 v89, -1, v89, s[62:63]               // LDD clip if OOB. offset

/* rC *= alpha batchElements=[(0, 2, 0, 0), (0, 3, 0, 0)] */
v_mul_f64 v[84:85], s[sgprAlpha+0:sgprAlpha+0+1], v[vgprValuC+16:vgprValuC+16+1] // 
v_mul_f64 v[86:87], s[sgprAlpha+2:sgprAlpha+2+1], v[vgprValuC+16:vgprValuC+16+1] // 
v_fma_f64 v[vgprValuC+96:vgprValuC+96+1], s[sgprAlpha+2:sgprAlpha+2+1], -v[vgprValuC+56:vgprValuC+56+1], v[84:85]
v_fma_f64 v[vgprValuC+96 +2:vgprValuC+96 +2+1], s[sgprAlpha+0:sgprAlpha+0+1], v[vgprValuC+56:vgprValuC+56+1], v[86:87]
v_mul_f64 v[84:85], s[sgprAlpha+0:sgprAlpha+0+1], v[vgprValuC+24:vgprValuC+24+1] // 
v_mul_f64 v[86:87], s[sgprAlpha+2:sgprAlpha+2+1], v[vgprValuC+24:vgprValuC+24+1] // 
v_fma_f64 v[vgprValuC+104:vgprValuC+104+1], s[sgprAlpha+2:sgprAlpha+2+1], -v[vgprValuC+64:vgprValuC+64+1], v[84:85]
v_fma_f64 v[vgprValuC+104 +2:vgprValuC+104 +2+1], s[sgprAlpha+0:sgprAlpha+0+1], v[vgprValuC+64:vgprValuC+64+1], v[86:87]
s_waitcnt vmcnt(0)                                 // wait C

/* apply mask, calc new C and issue writes */
v_fma_f64 v[vgprValuC+96:vgprValuC+96+1], v[92:93], s[sgprBeta+0:sgprBeta+0+1], v[vgprValuC+96:vgprValuC+96+1]
v_fma_f64 v[vgprValuC+96:vgprValuC+96+1], v[94:95], -s[sgprBeta+2:sgprBeta+2+1], v[vgprValuC+96:vgprValuC+96+1]
v_fma_f64 v[vgprValuC+98:vgprValuC+98+1], v[92:93], s[sgprBeta+2:sgprBeta+2+1], v[vgprValuC+98:vgprValuC+98+1]
v_fma_f64 v[vgprValuC+98:vgprValuC+98+1], v[94:95], s[sgprBeta+0:sgprBeta+0+1], v[vgprValuC+98:vgprValuC+98+1]
_buffer_store_b128 v[96:99], v88, s[sgprSrdD:sgprSrdD+3], 0, offen, offset:0 // store D
v_fma_f64 v[vgprValuC+104:vgprValuC+104+1], v[100:101], s[sgprBeta+0:sgprBeta+0+1], v[vgprValuC+104:vgprValuC+104+1]
v_fma_f64 v[vgprValuC+104:vgprValuC+104+1], v[102:103], -s[sgprBeta+2:sgprBeta+2+1], v[vgprValuC+104:vgprValuC+104+1]
v_fma_f64 v[vgprValuC+106:vgprValuC+106+1], v[100:101], s[sgprBeta+2:sgprBeta+2+1], v[vgprValuC+106:vgprValuC+106+1]
v_fma_f64 v[vgprValuC+106:vgprValuC+106+1], v[102:103], s[sgprBeta+0:sgprBeta+0+1], v[vgprValuC+106:vgprValuC+106+1]
_buffer_store_b128 v[104:107], v89, s[sgprSrdD:sgprSrdD+3], 0, offen, offset:0 // store D
s_nop 0                                            // 1 wait state required when next inst writes vgprs held by previous dwordx4 store inst
/* optSingleColVgpr=0 optSharedColVgpr=0 optSGPRUsage=BufferLoad_Edge_Mask optSrdIncForRow=0 */

/******************************************/
/* Global Write Alpha Beta Edge Batch #2 (d1,d0,vc1,vc0) = */
/*    (0,4,0,0:vw1); (1,0,0,0:vw1)        */
/******************************************/

/* calc coords, apply mask, and issue loads (if necessary) */
/* (d1,vc1,d0,vc0)=(0,0,4,0) */
_v_add_co_u32 v84, vcc, v80, 64                    // coord0.1: coord0 += d0*sg0*VW + vc0
v_cmp_lt_u32 s[58:59], v84, s[sgprSizeI]           // coord0 < size0
v_cmp_lt_u32 s[62:63], v81, s[sgprSizeJ]           // coord1 < size1
s_and_b64 s[62:63], s[58:59], s[62:63]             // in0 && in1
_v_add_lshl_u32 v88, v82, v84, 0x4                 // scaleToBpe: accumulate d0 lower and *= bpe into Cin addr
v_cndmask_b32 v88, -1, v88, s[62:63]               // LDC clip if OOB. offset
_buffer_load_b128 v[92:95], v88, s[sgprSrdC:sgprSrdC+3], 0, offen offset:0 // load C for beta calc
_v_add_lshl_u32 v88, v83, v84, 0x4                 // scaleToBpe: accumulate d0 lower and *= bpe into Cin addr
v_cndmask_b32 v88, -1, v88, s[62:63]               // LDD clip if OOB. offset
/* (d1,vc1,d0,vc0)=(1,0,0,0) */
_v_add_co_u32 v81, vcc, v81, 4                     // coord1.1: coord1Vgpr += d1*sg1*VW + vc1

/* Fix for UseInitialStridesCD, emitAddressSetupCode */
s_mul_i32 s58, s[sgprStrideC1J], 4                 // scale stride
_v_add_u32 v82, v82, s58                           // ROWINC- Move cinRowPtr to next row
s_mul_i32 s58, s[sgprStrideD1J], 4                 // scale stride
_v_add_u32 v83, v83, s58                           // Move coutRowPtr to next row
v_cmp_lt_u32 s[58:59], v80, s[sgprSizeI]           // coord0 < size0
v_cmp_lt_u32 s[62:63], v81, s[sgprSizeJ]           // coord1 < size1
s_and_b64 s[62:63], s[58:59], s[62:63]             // in0 && in1
_v_add_lshl_u32 v89, v82, v80, 0x4                 // scaleToBpe: accumulate d0 lower and *= bpe into Cin addr
v_cndmask_b32 v89, -1, v89, s[62:63]               // LDC clip if OOB. offset
_buffer_load_b128 v[100:103], v89, s[sgprSrdC:sgprSrdC+3], 0, offen offset:0 // load C for beta calc
_v_add_lshl_u32 v89, v83, v80, 0x4                 // scaleToBpe: accumulate d0 lower and *= bpe into Cin addr
v_cndmask_b32 v89, -1, v89, s[62:63]               // LDD clip if OOB. offset

/* rC *= alpha batchElements=[(0, 4, 0, 0), (1, 0, 0, 0)] */
v_mul_f64 v[84:85], s[sgprAlpha+0:sgprAlpha+0+1], v[vgprValuC+32:vgprValuC+32+1] // 
v_mul_f64 v[86:87], s[sgprAlpha+2:sgprAlpha+2+1], v[vgprValuC+32:vgprValuC+32+1] // 
v_fma_f64 v[vgprValuC+96:vgprValuC+96+1], s[sgprAlpha+2:sgprAlpha+2+1], -v[vgprValuC+72:vgprValuC+72+1], v[84:85]
v_fma_f64 v[vgprValuC+96 +2:vgprValuC+96 +2+1], s[sgprAlpha+0:sgprAlpha+0+1], v[vgprValuC+72:vgprValuC+72+1], v[86:87]
v_mul_f64 v[84:85], s[sgprAlpha+0:sgprAlpha+0+1], v[vgprValuC+2:vgprValuC+2+1] // 
v_mul_f64 v[86:87], s[sgprAlpha+2:sgprAlpha+2+1], v[vgprValuC+2:vgprValuC+2+1] // 
v_fma_f64 v[vgprValuC+104:vgprValuC+104+1], s[sgprAlpha+2:sgprAlpha+2+1], -v[vgprValuC+42:vgprValuC+42+1], v[84:85]
v_fma_f64 v[vgprValuC+104 +2:vgprValuC+104 +2+1], s[sgprAlpha+0:sgprAlpha+0+1], v[vgprValuC+42:vgprValuC+42+1], v[86:87]
s_waitcnt vmcnt(0)                                 // wait C

/* apply mask, calc new C and issue writes */
v_fma_f64 v[vgprValuC+96:vgprValuC+96+1], v[92:93], s[sgprBeta+0:sgprBeta+0+1], v[vgprValuC+96:vgprValuC+96+1]
v_fma_f64 v[vgprValuC+96:vgprValuC+96+1], v[94:95], -s[sgprBeta+2:sgprBeta+2+1], v[vgprValuC+96:vgprValuC+96+1]
v_fma_f64 v[vgprValuC+98:vgprValuC+98+1], v[92:93], s[sgprBeta+2:sgprBeta+2+1], v[vgprValuC+98:vgprValuC+98+1]
v_fma_f64 v[vgprValuC+98:vgprValuC+98+1], v[94:95], s[sgprBeta+0:sgprBeta+0+1], v[vgprValuC+98:vgprValuC+98+1]
_buffer_store_b128 v[96:99], v88, s[sgprSrdD:sgprSrdD+3], 0, offen, offset:0 // store D
v_fma_f64 v[vgprValuC+104:vgprValuC+104+1], v[100:101], s[sgprBeta+0:sgprBeta+0+1], v[vgprValuC+104:vgprValuC+104+1]
v_fma_f64 v[vgprValuC+104:vgprValuC+104+1], v[102:103], -s[sgprBeta+2:sgprBeta+2+1], v[vgprValuC+104:vgprValuC+104+1]
v_fma_f64 v[vgprValuC+106:vgprValuC+106+1], v[100:101], s[sgprBeta+2:sgprBeta+2+1], v[vgprValuC+106:vgprValuC+106+1]
v_fma_f64 v[vgprValuC+106:vgprValuC+106+1], v[102:103], s[sgprBeta+0:sgprBeta+0+1], v[vgprValuC+106:vgprValuC+106+1]
_buffer_store_b128 v[104:107], v89, s[sgprSrdD:sgprSrdD+3], 0, offen, offset:0 // store D
s_nop 0                                            // 1 wait state required when next inst writes vgprs held by previous dwordx4 store inst
/* optSingleColVgpr=0 optSharedColVgpr=0 optSGPRUsage=BufferLoad_Edge_Mask optSrdIncForRow=0 */

/******************************************/
/* Global Write Alpha Beta Edge Batch #3 (d1,d0,vc1,vc0) = */
/*    (1,1,0,0:vw1); (1,2,0,0:vw1)        */
/******************************************/

/* calc coords, apply mask, and issue loads (if necessary) */
/* (d1,vc1,d0,vc0)=(1,0,1,0) */
_v_add_co_u32 v84, vcc, v80, 16                    // coord0.1: coord0 += d0*sg0*VW + vc0
v_cmp_lt_u32 s[58:59], v84, s[sgprSizeI]           // coord0 < size0
v_cmp_lt_u32 s[62:63], v81, s[sgprSizeJ]           // coord1 < size1
s_and_b64 s[62:63], s[58:59], s[62:63]             // in0 && in1
_v_add_lshl_u32 v88, v82, v84, 0x4                 // scaleToBpe: accumulate d0 lower and *= bpe into Cin addr
v_cndmask_b32 v88, -1, v88, s[62:63]               // LDC clip if OOB. offset
_buffer_load_b128 v[92:95], v88, s[sgprSrdC:sgprSrdC+3], 0, offen offset:0 // load C for beta calc
_v_add_lshl_u32 v88, v83, v84, 0x4                 // scaleToBpe: accumulate d0 lower and *= bpe into Cin addr
v_cndmask_b32 v88, -1, v88, s[62:63]               // LDD clip if OOB. offset
/* (d1,vc1,d0,vc0)=(1,0,2,0) */
_v_add_co_u32 v84, vcc, v80, 32                    // coord0.1: coord0 += d0*sg0*VW + vc0
v_cmp_lt_u32 s[58:59], v84, s[sgprSizeI]           // coord0 < size0
v_cmp_lt_u32 s[62:63], v81, s[sgprSizeJ]           // coord1 < size1
s_and_b64 s[62:63], s[58:59], s[62:63]             // in0 && in1
_v_add_lshl_u32 v89, v82, v84, 0x4                 // scaleToBpe: accumulate d0 lower and *= bpe into Cin addr
v_cndmask_b32 v89, -1, v89, s[62:63]               // LDC clip if OOB. offset
_buffer_load_b128 v[100:103], v89, s[sgprSrdC:sgprSrdC+3], 0, offen offset:0 // load C for beta calc
_v_add_lshl_u32 v89, v83, v84, 0x4                 // scaleToBpe: accumulate d0 lower and *= bpe into Cin addr
v_cndmask_b32 v89, -1, v89, s[62:63]               // LDD clip if OOB. offset

/* rC *= alpha batchElements=[(1, 1, 0, 0), (1, 2, 0, 0)] */
v_mul_f64 v[84:85], s[sgprAlpha+0:sgprAlpha+0+1], v[vgprValuC+10:vgprValuC+10+1] // 
v_mul_f64 v[86:87], s[sgprAlpha+2:sgprAlpha+2+1], v[vgprValuC+10:vgprValuC+10+1] // 
v_fma_f64 v[vgprValuC+96:vgprValuC+96+1], s[sgprAlpha+2:sgprAlpha+2+1], -v[vgprValuC+50:vgprValuC+50+1], v[84:85]
v_fma_f64 v[vgprValuC+96 +2:vgprValuC+96 +2+1], s[sgprAlpha+0:sgprAlpha+0+1], v[vgprValuC+50:vgprValuC+50+1], v[86:87]
v_mul_f64 v[84:85], s[sgprAlpha+0:sgprAlpha+0+1], v[vgprValuC+18:vgprValuC+18+1] // 
v_mul_f64 v[86:87], s[sgprAlpha+2:sgprAlpha+2+1], v[vgprValuC+18:vgprValuC+18+1] // 
v_fma_f64 v[vgprValuC+104:vgprValuC+104+1], s[sgprAlpha+2:sgprAlpha+2+1], -v[vgprValuC+58:vgprValuC+58+1], v[84:85]
v_fma_f64 v[vgprValuC+104 +2:vgprValuC+104 +2+1], s[sgprAlpha+0:sgprAlpha+0+1], v[vgprValuC+58:vgprValuC+58+1], v[86:87]
s_waitcnt vmcnt(0)                                 // wait C

/* apply mask, calc new C and issue writes */
v_fma_f64 v[vgprValuC+96:vgprValuC+96+1], v[92:93], s[sgprBeta+0:sgprBeta+0+1], v[vgprValuC+96:vgprValuC+96+1]
v_fma_f64 v[vgprValuC+96:vgprValuC+96+1], v[94:95], -s[sgprBeta+2:sgprBeta+2+1], v[vgprValuC+96:vgprValuC+96+1]
v_fma_f64 v[vgprValuC+98:vgprValuC+98+1], v[92:93], s[sgprBeta+2:sgprBeta+2+1], v[vgprValuC+98:vgprValuC+98+1]
v_fma_f64 v[vgprValuC+98:vgprValuC+98+1], v[94:95], s[sgprBeta+0:sgprBeta+0+1], v[vgprValuC+98:vgprValuC+98+1]
_buffer_store_b128 v[96:99], v88, s[sgprSrdD:sgprSrdD+3], 0, offen, offset:0 // store D
v_fma_f64 v[vgprValuC+104:vgprValuC+104+1], v[100:101], s[sgprBeta+0:sgprBeta+0+1], v[vgprValuC+104:vgprValuC+104+1]
v_fma_f64 v[vgprValuC+104:vgprValuC+104+1], v[102:103], -s[sgprBeta+2:sgprBeta+2+1], v[vgprValuC+104:vgprValuC+104+1]
v_fma_f64 v[vgprValuC+106:vgprValuC+106+1], v[100:101], s[sgprBeta+2:sgprBeta+2+1], v[vgprValuC+106:vgprValuC+106+1]
v_fma_f64 v[vgprValuC+106:vgprValuC+106+1], v[102:103], s[sgprBeta+0:sgprBeta+0+1], v[vgprValuC+106:vgprValuC+106+1]
_buffer_store_b128 v[104:107], v89, s[sgprSrdD:sgprSrdD+3], 0, offen, offset:0 // store D
s_nop 0                                            // 1 wait state required when next inst writes vgprs held by previous dwordx4 store inst
/* optSingleColVgpr=0 optSharedColVgpr=0 optSGPRUsage=BufferLoad_Edge_Mask optSrdIncForRow=0 */

/******************************************/
/* Global Write Alpha Beta Edge Batch #4 (d1,d0,vc1,vc0) = */
/*    (1,3,0,0:vw1); (1,4,0,0:vw1)        */
/******************************************/

/* calc coords, apply mask, and issue loads (if necessary) */
/* (d1,vc1,d0,vc0)=(1,0,3,0) */
_v_add_co_u32 v84, vcc, v80, 48                    // coord0.1: coord0 += d0*sg0*VW + vc0
v_cmp_lt_u32 s[58:59], v84, s[sgprSizeI]           // coord0 < size0
v_cmp_lt_u32 s[62:63], v81, s[sgprSizeJ]           // coord1 < size1
s_and_b64 s[62:63], s[58:59], s[62:63]             // in0 && in1
_v_add_lshl_u32 v88, v82, v84, 0x4                 // scaleToBpe: accumulate d0 lower and *= bpe into Cin addr
v_cndmask_b32 v88, -1, v88, s[62:63]               // LDC clip if OOB. offset
_buffer_load_b128 v[92:95], v88, s[sgprSrdC:sgprSrdC+3], 0, offen offset:0 // load C for beta calc
_v_add_lshl_u32 v88, v83, v84, 0x4                 // scaleToBpe: accumulate d0 lower and *= bpe into Cin addr
v_cndmask_b32 v88, -1, v88, s[62:63]               // LDD clip if OOB. offset
/* (d1,vc1,d0,vc0)=(1,0,4,0) */
_v_add_co_u32 v84, vcc, v80, 64                    // coord0.1: coord0 += d0*sg0*VW + vc0
v_cmp_lt_u32 s[58:59], v84, s[sgprSizeI]           // coord0 < size0
v_cmp_lt_u32 s[62:63], v81, s[sgprSizeJ]           // coord1 < size1
s_and_b64 s[62:63], s[58:59], s[62:63]             // in0 && in1
_v_add_lshl_u32 v89, v82, v84, 0x4                 // scaleToBpe: accumulate d0 lower and *= bpe into Cin addr
v_cndmask_b32 v89, -1, v89, s[62:63]               // LDC clip if OOB. offset
_buffer_load_b128 v[100:103], v89, s[sgprSrdC:sgprSrdC+3], 0, offen offset:0 // load C for beta calc
_v_add_lshl_u32 v89, v83, v84, 0x4                 // scaleToBpe: accumulate d0 lower and *= bpe into Cin addr
v_cndmask_b32 v89, -1, v89, s[62:63]               // LDD clip if OOB. offset

/* rC *= alpha batchElements=[(1, 3, 0, 0), (1, 4, 0, 0)] */
v_mul_f64 v[84:85], s[sgprAlpha+0:sgprAlpha+0+1], v[vgprValuC+26:vgprValuC+26+1] // 
v_mul_f64 v[86:87], s[sgprAlpha+2:sgprAlpha+2+1], v[vgprValuC+26:vgprValuC+26+1] // 
v_fma_f64 v[vgprValuC+96:vgprValuC+96+1], s[sgprAlpha+2:sgprAlpha+2+1], -v[vgprValuC+66:vgprValuC+66+1], v[84:85]
v_fma_f64 v[vgprValuC+96 +2:vgprValuC+96 +2+1], s[sgprAlpha+0:sgprAlpha+0+1], v[vgprValuC+66:vgprValuC+66+1], v[86:87]
v_mul_f64 v[84:85], s[sgprAlpha+0:sgprAlpha+0+1], v[vgprValuC+34:vgprValuC+34+1] // 
v_mul_f64 v[86:87], s[sgprAlpha+2:sgprAlpha+2+1], v[vgprValuC+34:vgprValuC+34+1] // 
v_fma_f64 v[vgprValuC+104:vgprValuC+104+1], s[sgprAlpha+2:sgprAlpha+2+1], -v[vgprValuC+74:vgprValuC+74+1], v[84:85]
v_fma_f64 v[vgprValuC+104 +2:vgprValuC+104 +2+1], s[sgprAlpha+0:sgprAlpha+0+1], v[vgprValuC+74:vgprValuC+74+1], v[86:87]
s_waitcnt vmcnt(0)                                 // wait C

/* apply mask, calc new C and issue writes */
v_fma_f64 v[vgprValuC+96:vgprValuC+96+1], v[92:93], s[sgprBeta+0:sgprBeta+0+1], v[vgprValuC+96:vgprValuC+96+1]
v_fma_f64 v[vgprValuC+96:vgprValuC+96+1], v[94:95], -s[sgprBeta+2:sgprBeta+2+1], v[vgprValuC+96:vgprValuC+96+1]
v_fma_f64 v[vgprValuC+98:vgprValuC+98+1], v[92:93], s[sgprBeta+2:sgprBeta+2+1], v[vgprValuC+98:vgprValuC+98+1]
v_fma_f64 v[vgprValuC+98:vgprValuC+98+1], v[94:95], s[sgprBeta+0:sgprBeta+0+1], v[vgprValuC+98:vgprValuC+98+1]
_buffer_store_b128 v[96:99], v88, s[sgprSrdD:sgprSrdD+3], 0, offen, offset:0 // store D
v_fma_f64 v[vgprValuC+104:vgprValuC+104+1], v[100:101], s[sgprBeta+0:sgprBeta+0+1], v[vgprValuC+104:vgprValuC+104+1]
v_fma_f64 v[vgprValuC+104:vgprValuC+104+1], v[102:103], -s[sgprBeta+2:sgprBeta+2+1], v[vgprValuC+104:vgprValuC+104+1]
v_fma_f64 v[vgprValuC+106:vgprValuC+106+1], v[100:101], s[sgprBeta+2:sgprBeta+2+1], v[vgprValuC+106:vgprValuC+106+1]
v_fma_f64 v[vgprValuC+106:vgprValuC+106+1], v[102:103], s[sgprBeta+0:sgprBeta+0+1], v[vgprValuC+106:vgprValuC+106+1]
_buffer_store_b128 v[104:107], v89, s[sgprSrdD:sgprSrdD+3], 0, offen, offset:0 // store D
s_nop 0                                            // 1 wait state required when next inst writes vgprs held by previous dwordx4 store inst
/* optSingleColVgpr=0 optSharedColVgpr=0 optSGPRUsage=BufferLoad_Edge_Mask optSrdIncForRow=0 */

/******************************************/
/* Global Write Alpha Beta Edge Batch #5 (d1,d0,vc1,vc0) = */
/*    (2,0,0,0:vw1); (2,1,0,0:vw1)        */
/******************************************/

/* calc coords, apply mask, and issue loads (if necessary) */
/* (d1,vc1,d0,vc0)=(2,0,0,0) */
_v_add_co_u32 v81, vcc, v81, 4                     // coord1.1: coord1Vgpr += d1*sg1*VW + vc1

/* Fix for UseInitialStridesCD, emitAddressSetupCode */
s_mul_i32 s58, s[sgprStrideC1J], 4                 // scale stride
_v_add_u32 v82, v82, s58                           // ROWINC- Move cinRowPtr to next row
s_mul_i32 s58, s[sgprStrideD1J], 4                 // scale stride
_v_add_u32 v83, v83, s58                           // Move coutRowPtr to next row
v_cmp_lt_u32 s[58:59], v80, s[sgprSizeI]           // coord0 < size0
v_cmp_lt_u32 s[62:63], v81, s[sgprSizeJ]           // coord1 < size1
s_and_b64 s[62:63], s[58:59], s[62:63]             // in0 && in1
_v_add_lshl_u32 v88, v82, v80, 0x4                 // scaleToBpe: accumulate d0 lower and *= bpe into Cin addr
v_cndmask_b32 v88, -1, v88, s[62:63]               // LDC clip if OOB. offset
_buffer_load_b128 v[92:95], v88, s[sgprSrdC:sgprSrdC+3], 0, offen offset:0 // load C for beta calc
_v_add_lshl_u32 v88, v83, v80, 0x4                 // scaleToBpe: accumulate d0 lower and *= bpe into Cin addr
v_cndmask_b32 v88, -1, v88, s[62:63]               // LDD clip if OOB. offset
/* (d1,vc1,d0,vc0)=(2,0,1,0) */
_v_add_co_u32 v84, vcc, v80, 16                    // coord0.1: coord0 += d0*sg0*VW + vc0
v_cmp_lt_u32 s[58:59], v84, s[sgprSizeI]           // coord0 < size0
v_cmp_lt_u32 s[62:63], v81, s[sgprSizeJ]           // coord1 < size1
s_and_b64 s[62:63], s[58:59], s[62:63]             // in0 && in1
_v_add_lshl_u32 v89, v82, v84, 0x4                 // scaleToBpe: accumulate d0 lower and *= bpe into Cin addr
v_cndmask_b32 v89, -1, v89, s[62:63]               // LDC clip if OOB. offset
_buffer_load_b128 v[100:103], v89, s[sgprSrdC:sgprSrdC+3], 0, offen offset:0 // load C for beta calc
_v_add_lshl_u32 v89, v83, v84, 0x4                 // scaleToBpe: accumulate d0 lower and *= bpe into Cin addr
v_cndmask_b32 v89, -1, v89, s[62:63]               // LDD clip if OOB. offset

/* rC *= alpha batchElements=[(2, 0, 0, 0), (2, 1, 0, 0)] */
v_mul_f64 v[84:85], s[sgprAlpha+0:sgprAlpha+0+1], v[vgprValuC+4:vgprValuC+4+1] // 
v_mul_f64 v[86:87], s[sgprAlpha+2:sgprAlpha+2+1], v[vgprValuC+4:vgprValuC+4+1] // 
v_fma_f64 v[vgprValuC+96:vgprValuC+96+1], s[sgprAlpha+2:sgprAlpha+2+1], -v[vgprValuC+44:vgprValuC+44+1], v[84:85]
v_fma_f64 v[vgprValuC+96 +2:vgprValuC+96 +2+1], s[sgprAlpha+0:sgprAlpha+0+1], v[vgprValuC+44:vgprValuC+44+1], v[86:87]
v_mul_f64 v[84:85], s[sgprAlpha+0:sgprAlpha+0+1], v[vgprValuC+12:vgprValuC+12+1] // 
v_mul_f64 v[86:87], s[sgprAlpha+2:sgprAlpha+2+1], v[vgprValuC+12:vgprValuC+12+1] // 
v_fma_f64 v[vgprValuC+104:vgprValuC+104+1], s[sgprAlpha+2:sgprAlpha+2+1], -v[vgprValuC+52:vgprValuC+52+1], v[84:85]
v_fma_f64 v[vgprValuC+104 +2:vgprValuC+104 +2+1], s[sgprAlpha+0:sgprAlpha+0+1], v[vgprValuC+52:vgprValuC+52+1], v[86:87]
s_waitcnt vmcnt(0)                                 // wait C

/* apply mask, calc new C and issue writes */
v_fma_f64 v[vgprValuC+96:vgprValuC+96+1], v[92:93], s[sgprBeta+0:sgprBeta+0+1], v[vgprValuC+96:vgprValuC+96+1]
v_fma_f64 v[vgprValuC+96:vgprValuC+96+1], v[94:95], -s[sgprBeta+2:sgprBeta+2+1], v[vgprValuC+96:vgprValuC+96+1]
v_fma_f64 v[vgprValuC+98:vgprValuC+98+1], v[92:93], s[sgprBeta+2:sgprBeta+2+1], v[vgprValuC+98:vgprValuC+98+1]
v_fma_f64 v[vgprValuC+98:vgprValuC+98+1], v[94:95], s[sgprBeta+0:sgprBeta+0+1], v[vgprValuC+98:vgprValuC+98+1]
_buffer_store_b128 v[96:99], v88, s[sgprSrdD:sgprSrdD+3], 0, offen, offset:0 // store D
v_fma_f64 v[vgprValuC+104:vgprValuC+104+1], v[100:101], s[sgprBeta+0:sgprBeta+0+1], v[vgprValuC+104:vgprValuC+104+1]
v_fma_f64 v[vgprValuC+104:vgprValuC+104+1], v[102:103], -s[sgprBeta+2:sgprBeta+2+1], v[vgprValuC+104:vgprValuC+104+1]
v_fma_f64 v[vgprValuC+106:vgprValuC+106+1], v[100:101], s[sgprBeta+2:sgprBeta+2+1], v[vgprValuC+106:vgprValuC+106+1]
v_fma_f64 v[vgprValuC+106:vgprValuC+106+1], v[102:103], s[sgprBeta+0:sgprBeta+0+1], v[vgprValuC+106:vgprValuC+106+1]
_buffer_store_b128 v[104:107], v89, s[sgprSrdD:sgprSrdD+3], 0, offen, offset:0 // store D
s_nop 0                                            // 1 wait state required when next inst writes vgprs held by previous dwordx4 store inst
/* optSingleColVgpr=0 optSharedColVgpr=0 optSGPRUsage=BufferLoad_Edge_Mask optSrdIncForRow=0 */

/******************************************/
/* Global Write Alpha Beta Edge Batch #6 (d1,d0,vc1,vc0) = */
/*    (2,2,0,0:vw1); (2,3,0,0:vw1)        */
/******************************************/

/* calc coords, apply mask, and issue loads (if necessary) */
/* (d1,vc1,d0,vc0)=(2,0,2,0) */
_v_add_co_u32 v84, vcc, v80, 32                    // coord0.1: coord0 += d0*sg0*VW + vc0
v_cmp_lt_u32 s[58:59], v84, s[sgprSizeI]           // coord0 < size0
v_cmp_lt_u32 s[62:63], v81, s[sgprSizeJ]           // coord1 < size1
s_and_b64 s[62:63], s[58:59], s[62:63]             // in0 && in1
_v_add_lshl_u32 v88, v82, v84, 0x4                 // scaleToBpe: accumulate d0 lower and *= bpe into Cin addr
v_cndmask_b32 v88, -1, v88, s[62:63]               // LDC clip if OOB. offset
_buffer_load_b128 v[92:95], v88, s[sgprSrdC:sgprSrdC+3], 0, offen offset:0 // load C for beta calc
_v_add_lshl_u32 v88, v83, v84, 0x4                 // scaleToBpe: accumulate d0 lower and *= bpe into Cin addr
v_cndmask_b32 v88, -1, v88, s[62:63]               // LDD clip if OOB. offset
/* (d1,vc1,d0,vc0)=(2,0,3,0) */
_v_add_co_u32 v84, vcc, v80, 48                    // coord0.1: coord0 += d0*sg0*VW + vc0
v_cmp_lt_u32 s[58:59], v84, s[sgprSizeI]           // coord0 < size0
v_cmp_lt_u32 s[62:63], v81, s[sgprSizeJ]           // coord1 < size1
s_and_b64 s[62:63], s[58:59], s[62:63]             // in0 && in1
_v_add_lshl_u32 v89, v82, v84, 0x4                 // scaleToBpe: accumulate d0 lower and *= bpe into Cin addr
v_cndmask_b32 v89, -1, v89, s[62:63]               // LDC clip if OOB. offset
_buffer_load_b128 v[100:103], v89, s[sgprSrdC:sgprSrdC+3], 0, offen offset:0 // load C for beta calc
_v_add_lshl_u32 v89, v83, v84, 0x4                 // scaleToBpe: accumulate d0 lower and *= bpe into Cin addr
v_cndmask_b32 v89, -1, v89, s[62:63]               // LDD clip if OOB. offset

/* rC *= alpha batchElements=[(2, 2, 0, 0), (2, 3, 0, 0)] */
v_mul_f64 v[84:85], s[sgprAlpha+0:sgprAlpha+0+1], v[vgprValuC+20:vgprValuC+20+1] // 
v_mul_f64 v[86:87], s[sgprAlpha+2:sgprAlpha+2+1], v[vgprValuC+20:vgprValuC+20+1] // 
v_fma_f64 v[vgprValuC+96:vgprValuC+96+1], s[sgprAlpha+2:sgprAlpha+2+1], -v[vgprValuC+60:vgprValuC+60+1], v[84:85]
v_fma_f64 v[vgprValuC+96 +2:vgprValuC+96 +2+1], s[sgprAlpha+0:sgprAlpha+0+1], v[vgprValuC+60:vgprValuC+60+1], v[86:87]
v_mul_f64 v[84:85], s[sgprAlpha+0:sgprAlpha+0+1], v[vgprValuC+28:vgprValuC+28+1] // 
v_mul_f64 v[86:87], s[sgprAlpha+2:sgprAlpha+2+1], v[vgprValuC+28:vgprValuC+28+1] // 
v_fma_f64 v[vgprValuC+104:vgprValuC+104+1], s[sgprAlpha+2:sgprAlpha+2+1], -v[vgprValuC+68:vgprValuC+68+1], v[84:85]
v_fma_f64 v[vgprValuC+104 +2:vgprValuC+104 +2+1], s[sgprAlpha+0:sgprAlpha+0+1], v[vgprValuC+68:vgprValuC+68+1], v[86:87]
s_waitcnt vmcnt(0)                                 // wait C

/* apply mask, calc new C and issue writes */
v_fma_f64 v[vgprValuC+96:vgprValuC+96+1], v[92:93], s[sgprBeta+0:sgprBeta+0+1], v[vgprValuC+96:vgprValuC+96+1]
v_fma_f64 v[vgprValuC+96:vgprValuC+96+1], v[94:95], -s[sgprBeta+2:sgprBeta+2+1], v[vgprValuC+96:vgprValuC+96+1]
v_fma_f64 v[vgprValuC+98:vgprValuC+98+1], v[92:93], s[sgprBeta+2:sgprBeta+2+1], v[vgprValuC+98:vgprValuC+98+1]
v_fma_f64 v[vgprValuC+98:vgprValuC+98+1], v[94:95], s[sgprBeta+0:sgprBeta+0+1], v[vgprValuC+98:vgprValuC+98+1]
_buffer_store_b128 v[96:99], v88, s[sgprSrdD:sgprSrdD+3], 0, offen, offset:0 // store D
v_fma_f64 v[vgprValuC+104:vgprValuC+104+1], v[100:101], s[sgprBeta+0:sgprBeta+0+1], v[vgprValuC+104:vgprValuC+104+1]
v_fma_f64 v[vgprValuC+104:vgprValuC+104+1], v[102:103], -s[sgprBeta+2:sgprBeta+2+1], v[vgprValuC+104:vgprValuC+104+1]
v_fma_f64 v[vgprValuC+106:vgprValuC+106+1], v[100:101], s[sgprBeta+2:sgprBeta+2+1], v[vgprValuC+106:vgprValuC+106+1]
v_fma_f64 v[vgprValuC+106:vgprValuC+106+1], v[102:103], s[sgprBeta+0:sgprBeta+0+1], v[vgprValuC+106:vgprValuC+106+1]
_buffer_store_b128 v[104:107], v89, s[sgprSrdD:sgprSrdD+3], 0, offen, offset:0 // store D
s_nop 0                                            // 1 wait state required when next inst writes vgprs held by previous dwordx4 store inst
/* optSingleColVgpr=0 optSharedColVgpr=0 optSGPRUsage=BufferLoad_Edge_Mask optSrdIncForRow=0 */

/******************************************/
/* Global Write Alpha Beta Edge Batch #7 (d1,d0,vc1,vc0) = */
/*    (2,4,0,0:vw1); (3,0,0,0:vw1)        */
/******************************************/

/* calc coords, apply mask, and issue loads (if necessary) */
/* (d1,vc1,d0,vc0)=(2,0,4,0) */
_v_add_co_u32 v84, vcc, v80, 64                    // coord0.1: coord0 += d0*sg0*VW + vc0
v_cmp_lt_u32 s[58:59], v84, s[sgprSizeI]           // coord0 < size0
v_cmp_lt_u32 s[62:63], v81, s[sgprSizeJ]           // coord1 < size1
s_and_b64 s[62:63], s[58:59], s[62:63]             // in0 && in1
_v_add_lshl_u32 v88, v82, v84, 0x4                 // scaleToBpe: accumulate d0 lower and *= bpe into Cin addr
v_cndmask_b32 v88, -1, v88, s[62:63]               // LDC clip if OOB. offset
_buffer_load_b128 v[92:95], v88, s[sgprSrdC:sgprSrdC+3], 0, offen offset:0 // load C for beta calc
_v_add_lshl_u32 v88, v83, v84, 0x4                 // scaleToBpe: accumulate d0 lower and *= bpe into Cin addr
v_cndmask_b32 v88, -1, v88, s[62:63]               // LDD clip if OOB. offset
/* (d1,vc1,d0,vc0)=(3,0,0,0) */
_v_add_co_u32 v81, vcc, v81, 4                     // coord1.1: coord1Vgpr += d1*sg1*VW + vc1

/* Fix for UseInitialStridesCD, emitAddressSetupCode */
s_mul_i32 s58, s[sgprStrideC1J], 4                 // scale stride
_v_add_u32 v82, v82, s58                           // ROWINC- Move cinRowPtr to next row
s_mul_i32 s58, s[sgprStrideD1J], 4                 // scale stride
_v_add_u32 v83, v83, s58                           // Move coutRowPtr to next row
v_cmp_lt_u32 s[58:59], v80, s[sgprSizeI]           // coord0 < size0
v_cmp_lt_u32 s[62:63], v81, s[sgprSizeJ]           // coord1 < size1
s_and_b64 s[62:63], s[58:59], s[62:63]             // in0 && in1
_v_add_lshl_u32 v89, v82, v80, 0x4                 // scaleToBpe: accumulate d0 lower and *= bpe into Cin addr
v_cndmask_b32 v89, -1, v89, s[62:63]               // LDC clip if OOB. offset
_buffer_load_b128 v[100:103], v89, s[sgprSrdC:sgprSrdC+3], 0, offen offset:0 // load C for beta calc
_v_add_lshl_u32 v89, v83, v80, 0x4                 // scaleToBpe: accumulate d0 lower and *= bpe into Cin addr
v_cndmask_b32 v89, -1, v89, s[62:63]               // LDD clip if OOB. offset

/* rC *= alpha batchElements=[(2, 4, 0, 0), (3, 0, 0, 0)] */
v_mul_f64 v[84:85], s[sgprAlpha+0:sgprAlpha+0+1], v[vgprValuC+36:vgprValuC+36+1] // 
v_mul_f64 v[86:87], s[sgprAlpha+2:sgprAlpha+2+1], v[vgprValuC+36:vgprValuC+36+1] // 
v_fma_f64 v[vgprValuC+96:vgprValuC+96+1], s[sgprAlpha+2:sgprAlpha+2+1], -v[vgprValuC+76:vgprValuC+76+1], v[84:85]
v_fma_f64 v[vgprValuC+96 +2:vgprValuC+96 +2+1], s[sgprAlpha+0:sgprAlpha+0+1], v[vgprValuC+76:vgprValuC+76+1], v[86:87]
v_mul_f64 v[84:85], s[sgprAlpha+0:sgprAlpha+0+1], v[vgprValuC+6:vgprValuC+6+1] // 
v_mul_f64 v[86:87], s[sgprAlpha+2:sgprAlpha+2+1], v[vgprValuC+6:vgprValuC+6+1] // 
v_fma_f64 v[vgprValuC+104:vgprValuC+104+1], s[sgprAlpha+2:sgprAlpha+2+1], -v[vgprValuC+46:vgprValuC+46+1], v[84:85]
v_fma_f64 v[vgprValuC+104 +2:vgprValuC+104 +2+1], s[sgprAlpha+0:sgprAlpha+0+1], v[vgprValuC+46:vgprValuC+46+1], v[86:87]
s_waitcnt vmcnt(0)                                 // wait C

/* apply mask, calc new C and issue writes */
v_fma_f64 v[vgprValuC+96:vgprValuC+96+1], v[92:93], s[sgprBeta+0:sgprBeta+0+1], v[vgprValuC+96:vgprValuC+96+1]
v_fma_f64 v[vgprValuC+96:vgprValuC+96+1], v[94:95], -s[sgprBeta+2:sgprBeta+2+1], v[vgprValuC+96:vgprValuC+96+1]
v_fma_f64 v[vgprValuC+98:vgprValuC+98+1], v[92:93], s[sgprBeta+2:sgprBeta+2+1], v[vgprValuC+98:vgprValuC+98+1]
v_fma_f64 v[vgprValuC+98:vgprValuC+98+1], v[94:95], s[sgprBeta+0:sgprBeta+0+1], v[vgprValuC+98:vgprValuC+98+1]
_buffer_store_b128 v[96:99], v88, s[sgprSrdD:sgprSrdD+3], 0, offen, offset:0 // store D
v_fma_f64 v[vgprValuC+104:vgprValuC+104+1], v[100:101], s[sgprBeta+0:sgprBeta+0+1], v[vgprValuC+104:vgprValuC+104+1]
v_fma_f64 v[vgprValuC+104:vgprValuC+104+1], v[102:103], -s[sgprBeta+2:sgprBeta+2+1], v[vgprValuC+104:vgprValuC+104+1]
v_fma_f64 v[vgprValuC+106:vgprValuC+106+1], v[100:101], s[sgprBeta+2:sgprBeta+2+1], v[vgprValuC+106:vgprValuC+106+1]
v_fma_f64 v[vgprValuC+106:vgprValuC+106+1], v[102:103], s[sgprBeta+0:sgprBeta+0+1], v[vgprValuC+106:vgprValuC+106+1]
_buffer_store_b128 v[104:107], v89, s[sgprSrdD:sgprSrdD+3], 0, offen, offset:0 // store D
s_nop 0                                            // 1 wait state required when next inst writes vgprs held by previous dwordx4 store inst
/* optSingleColVgpr=0 optSharedColVgpr=0 optSGPRUsage=BufferLoad_Edge_Mask optSrdIncForRow=0 */

/******************************************/
/* Global Write Alpha Beta Edge Batch #8 (d1,d0,vc1,vc0) = */
/*    (3,1,0,0:vw1); (3,2,0,0:vw1)        */
/******************************************/

/* calc coords, apply mask, and issue loads (if necessary) */
/* (d1,vc1,d0,vc0)=(3,0,1,0) */
_v_add_co_u32 v84, vcc, v80, 16                    // coord0.1: coord0 += d0*sg0*VW + vc0
v_cmp_lt_u32 s[58:59], v84, s[sgprSizeI]           // coord0 < size0
v_cmp_lt_u32 s[62:63], v81, s[sgprSizeJ]           // coord1 < size1
s_and_b64 s[62:63], s[58:59], s[62:63]             // in0 && in1
_v_add_lshl_u32 v88, v82, v84, 0x4                 // scaleToBpe: accumulate d0 lower and *= bpe into Cin addr
v_cndmask_b32 v88, -1, v88, s[62:63]               // LDC clip if OOB. offset
_buffer_load_b128 v[92:95], v88, s[sgprSrdC:sgprSrdC+3], 0, offen offset:0 // load C for beta calc
_v_add_lshl_u32 v88, v83, v84, 0x4                 // scaleToBpe: accumulate d0 lower and *= bpe into Cin addr
v_cndmask_b32 v88, -1, v88, s[62:63]               // LDD clip if OOB. offset
/* (d1,vc1,d0,vc0)=(3,0,2,0) */
_v_add_co_u32 v84, vcc, v80, 32                    // coord0.1: coord0 += d0*sg0*VW + vc0
v_cmp_lt_u32 s[58:59], v84, s[sgprSizeI]           // coord0 < size0
v_cmp_lt_u32 s[62:63], v81, s[sgprSizeJ]           // coord1 < size1
s_and_b64 s[62:63], s[58:59], s[62:63]             // in0 && in1
_v_add_lshl_u32 v89, v82, v84, 0x4                 // scaleToBpe: accumulate d0 lower and *= bpe into Cin addr
v_cndmask_b32 v89, -1, v89, s[62:63]               // LDC clip if OOB. offset
_buffer_load_b128 v[100:103], v89, s[sgprSrdC:sgprSrdC+3], 0, offen offset:0 // load C for beta calc
_v_add_lshl_u32 v89, v83, v84, 0x4                 // scaleToBpe: accumulate d0 lower and *= bpe into Cin addr
v_cndmask_b32 v89, -1, v89, s[62:63]               // LDD clip if OOB. offset

/* rC *= alpha batchElements=[(3, 1, 0, 0), (3, 2, 0, 0)] */
v_mul_f64 v[84:85], s[sgprAlpha+0:sgprAlpha+0+1], v[vgprValuC+14:vgprValuC+14+1] // 
v_mul_f64 v[86:87], s[sgprAlpha+2:sgprAlpha+2+1], v[vgprValuC+14:vgprValuC+14+1] // 
v_fma_f64 v[vgprValuC+96:vgprValuC+96+1], s[sgprAlpha+2:sgprAlpha+2+1], -v[vgprValuC+54:vgprValuC+54+1], v[84:85]
v_fma_f64 v[vgprValuC+96 +2:vgprValuC+96 +2+1], s[sgprAlpha+0:sgprAlpha+0+1], v[vgprValuC+54:vgprValuC+54+1], v[86:87]
v_mul_f64 v[84:85], s[sgprAlpha+0:sgprAlpha+0+1], v[vgprValuC+22:vgprValuC+22+1] // 
v_mul_f64 v[86:87], s[sgprAlpha+2:sgprAlpha+2+1], v[vgprValuC+22:vgprValuC+22+1] // 
v_fma_f64 v[vgprValuC+104:vgprValuC+104+1], s[sgprAlpha+2:sgprAlpha+2+1], -v[vgprValuC+62:vgprValuC+62+1], v[84:85]
v_fma_f64 v[vgprValuC+104 +2:vgprValuC+104 +2+1], s[sgprAlpha+0:sgprAlpha+0+1], v[vgprValuC+62:vgprValuC+62+1], v[86:87]
s_waitcnt vmcnt(0)                                 // wait C

/* apply mask, calc new C and issue writes */
v_fma_f64 v[vgprValuC+96:vgprValuC+96+1], v[92:93], s[sgprBeta+0:sgprBeta+0+1], v[vgprValuC+96:vgprValuC+96+1]
v_fma_f64 v[vgprValuC+96:vgprValuC+96+1], v[94:95], -s[sgprBeta+2:sgprBeta+2+1], v[vgprValuC+96:vgprValuC+96+1]
v_fma_f64 v[vgprValuC+98:vgprValuC+98+1], v[92:93], s[sgprBeta+2:sgprBeta+2+1], v[vgprValuC+98:vgprValuC+98+1]
v_fma_f64 v[vgprValuC+98:vgprValuC+98+1], v[94:95], s[sgprBeta+0:sgprBeta+0+1], v[vgprValuC+98:vgprValuC+98+1]
_buffer_store_b128 v[96:99], v88, s[sgprSrdD:sgprSrdD+3], 0, offen, offset:0 // store D
v_fma_f64 v[vgprValuC+104:vgprValuC+104+1], v[100:101], s[sgprBeta+0:sgprBeta+0+1], v[vgprValuC+104:vgprValuC+104+1]
v_fma_f64 v[vgprValuC+104:vgprValuC+104+1], v[102:103], -s[sgprBeta+2:sgprBeta+2+1], v[vgprValuC+104:vgprValuC+104+1]
v_fma_f64 v[vgprValuC+106:vgprValuC+106+1], v[100:101], s[sgprBeta+2:sgprBeta+2+1], v[vgprValuC+106:vgprValuC+106+1]
v_fma_f64 v[vgprValuC+106:vgprValuC+106+1], v[102:103], s[sgprBeta+0:sgprBeta+0+1], v[vgprValuC+106:vgprValuC+106+1]
_buffer_store_b128 v[104:107], v89, s[sgprSrdD:sgprSrdD+3], 0, offen, offset:0 // store D
s_nop 0                                            // 1 wait state required when next inst writes vgprs held by previous dwordx4 store inst
/* optSingleColVgpr=0 optSharedColVgpr=0 optSGPRUsage=BufferLoad_Edge_Mask optSrdIncForRow=0 */

/******************************************/
/* Global Write Alpha Beta Edge Batch #9 (d1,d0,vc1,vc0) = */
/*    (3,3,0,0:vw1); (3,4,0,0:vw1)        */
/******************************************/

/* calc coords, apply mask, and issue loads (if necessary) */
/* (d1,vc1,d0,vc0)=(3,0,3,0) */
_v_add_co_u32 v84, vcc, v80, 48                    // coord0.1: coord0 += d0*sg0*VW + vc0
v_cmp_lt_u32 s[58:59], v84, s[sgprSizeI]           // coord0 < size0
v_cmp_lt_u32 s[62:63], v81, s[sgprSizeJ]           // coord1 < size1
s_and_b64 s[62:63], s[58:59], s[62:63]             // in0 && in1
_v_add_lshl_u32 v88, v82, v84, 0x4                 // scaleToBpe: accumulate d0 lower and *= bpe into Cin addr
v_cndmask_b32 v88, -1, v88, s[62:63]               // LDC clip if OOB. offset
_buffer_load_b128 v[92:95], v88, s[sgprSrdC:sgprSrdC+3], 0, offen offset:0 // load C for beta calc
_v_add_lshl_u32 v88, v83, v84, 0x4                 // scaleToBpe: accumulate d0 lower and *= bpe into Cin addr
v_cndmask_b32 v88, -1, v88, s[62:63]               // LDD clip if OOB. offset
/* (d1,vc1,d0,vc0)=(3,0,4,0) */
_v_add_co_u32 v84, vcc, v80, 64                    // coord0.1: coord0 += d0*sg0*VW + vc0
v_cmp_lt_u32 s[58:59], v84, s[sgprSizeI]           // coord0 < size0
v_cmp_lt_u32 s[62:63], v81, s[sgprSizeJ]           // coord1 < size1
s_and_b64 s[62:63], s[58:59], s[62:63]             // in0 && in1
_v_add_lshl_u32 v89, v82, v84, 0x4                 // scaleToBpe: accumulate d0 lower and *= bpe into Cin addr
v_cndmask_b32 v89, -1, v89, s[62:63]               // LDC clip if OOB. offset
_buffer_load_b128 v[100:103], v89, s[sgprSrdC:sgprSrdC+3], 0, offen offset:0 // load C for beta calc
_v_add_lshl_u32 v89, v83, v84, 0x4                 // scaleToBpe: accumulate d0 lower and *= bpe into Cin addr
v_cndmask_b32 v89, -1, v89, s[62:63]               // LDD clip if OOB. offset

/* rC *= alpha batchElements=[(3, 3, 0, 0), (3, 4, 0, 0)] */
v_mul_f64 v[84:85], s[sgprAlpha+0:sgprAlpha+0+1], v[vgprValuC+30:vgprValuC+30+1] // 
v_mul_f64 v[86:87], s[sgprAlpha+2:sgprAlpha+2+1], v[vgprValuC+30:vgprValuC+30+1] // 
v_fma_f64 v[vgprValuC+96:vgprValuC+96+1], s[sgprAlpha+2:sgprAlpha+2+1], -v[vgprValuC+70:vgprValuC+70+1], v[84:85]
v_fma_f64 v[vgprValuC+96 +2:vgprValuC+96 +2+1], s[sgprAlpha+0:sgprAlpha+0+1], v[vgprValuC+70:vgprValuC+70+1], v[86:87]
v_mul_f64 v[84:85], s[sgprAlpha+0:sgprAlpha+0+1], v[vgprValuC+38:vgprValuC+38+1] // 
v_mul_f64 v[86:87], s[sgprAlpha+2:sgprAlpha+2+1], v[vgprValuC+38:vgprValuC+38+1] // 
v_fma_f64 v[vgprValuC+104:vgprValuC+104+1], s[sgprAlpha+2:sgprAlpha+2+1], -v[vgprValuC+78:vgprValuC+78+1], v[84:85]
v_fma_f64 v[vgprValuC+104 +2:vgprValuC+104 +2+1], s[sgprAlpha+0:sgprAlpha+0+1], v[vgprValuC+78:vgprValuC+78+1], v[86:87]
s_waitcnt vmcnt(0)                                 // wait C

/* apply mask, calc new C and issue writes */
v_fma_f64 v[vgprValuC+96:vgprValuC+96+1], v[92:93], s[sgprBeta+0:sgprBeta+0+1], v[vgprValuC+96:vgprValuC+96+1]
v_fma_f64 v[vgprValuC+96:vgprValuC+96+1], v[94:95], -s[sgprBeta+2:sgprBeta+2+1], v[vgprValuC+96:vgprValuC+96+1]
v_fma_f64 v[vgprValuC+98:vgprValuC+98+1], v[92:93], s[sgprBeta+2:sgprBeta+2+1], v[vgprValuC+98:vgprValuC+98+1]
v_fma_f64 v[vgprValuC+98:vgprValuC+98+1], v[94:95], s[sgprBeta+0:sgprBeta+0+1], v[vgprValuC+98:vgprValuC+98+1]
_buffer_store_b128 v[96:99], v88, s[sgprSrdD:sgprSrdD+3], 0, offen, offset:0 // store D
v_fma_f64 v[vgprValuC+104:vgprValuC+104+1], v[100:101], s[sgprBeta+0:sgprBeta+0+1], v[vgprValuC+104:vgprValuC+104+1]
v_fma_f64 v[vgprValuC+104:vgprValuC+104+1], v[102:103], -s[sgprBeta+2:sgprBeta+2+1], v[vgprValuC+104:vgprValuC+104+1]
v_fma_f64 v[vgprValuC+106:vgprValuC+106+1], v[100:101], s[sgprBeta+2:sgprBeta+2+1], v[vgprValuC+106:vgprValuC+106+1]
v_fma_f64 v[vgprValuC+106:vgprValuC+106+1], v[102:103], s[sgprBeta+0:sgprBeta+0+1], v[vgprValuC+106:vgprValuC+106+1]
_buffer_store_b128 v[104:107], v89, s[sgprSrdD:sgprSrdD+3], 0, offen, offset:0 // store D
s_nop 0                                            // 1 wait state required when next inst writes vgprs held by previous dwordx4 store inst
s_branch label_GW_End_54                           // jump to end
label_GW_End_54:

label_0059:  /// KernelEnd
s_endpgm                                           // Kernel End

